;; amdgpu-corpus repo=ROCm/rocFFT kind=compiled arch=gfx906 opt=O3
	.text
	.amdgcn_target "amdgcn-amd-amdhsa--gfx906"
	.amdhsa_code_object_version 6
	.protected	bluestein_single_fwd_len429_dim1_dp_op_CI_CI ; -- Begin function bluestein_single_fwd_len429_dim1_dp_op_CI_CI
	.globl	bluestein_single_fwd_len429_dim1_dp_op_CI_CI
	.p2align	8
	.type	bluestein_single_fwd_len429_dim1_dp_op_CI_CI,@function
bluestein_single_fwd_len429_dim1_dp_op_CI_CI: ; @bluestein_single_fwd_len429_dim1_dp_op_CI_CI
; %bb.0:
	s_mov_b64 s[54:55], s[2:3]
	v_mul_u32_u24_e32 v1, 0x691, v0
	s_mov_b64 s[52:53], s[0:1]
	s_load_dwordx4 s[0:3], s[4:5], 0x28
	v_lshrrev_b32_e32 v1, 16, v1
	s_add_u32 s52, s52, s7
	v_mad_u64_u32 v[250:251], s[6:7], s6, 3, v[1:2]
	v_mov_b32_e32 v251, 0
	s_addc_u32 s53, s53, 0
	s_waitcnt lgkmcnt(0)
	v_cmp_gt_u64_e32 vcc, s[0:1], v[250:251]
	s_and_saveexec_b64 s[0:1], vcc
	s_cbranch_execz .LBB0_23
; %bb.1:
	s_mov_b32 s0, 0xaaaaaaab
	v_mul_hi_u32 v2, v250, s0
	v_mul_lo_u16_e32 v1, 39, v1
	s_load_dwordx2 s[14:15], s[4:5], 0x0
	s_load_dwordx2 s[12:13], s[4:5], 0x38
	v_sub_u16_e32 v248, v0, v1
	v_lshrrev_b32_e32 v0, 1, v2
	v_lshl_add_u32 v0, v0, 1, v0
	v_sub_u32_e32 v0, v250, v0
	v_mul_u32_u24_e32 v213, 0x1ad, v0
	v_cmp_gt_u16_e64 s[0:1], 33, v248
	v_lshlrev_b32_e32 v140, 4, v248
	v_lshlrev_b32_e32 v0, 4, v213
	buffer_store_dword v0, off, s[52:55], 0 ; 4-byte Folded Spill
	s_and_saveexec_b64 s[6:7], s[0:1]
	s_cbranch_execz .LBB0_3
; %bb.2:
	s_load_dwordx2 s[8:9], s[4:5], 0x18
	s_waitcnt lgkmcnt(0)
	s_load_dwordx4 s[8:11], s[8:9], 0x0
	s_waitcnt lgkmcnt(0)
	v_mad_u64_u32 v[0:1], s[16:17], s10, v250, 0
	v_mad_u64_u32 v[2:3], s[16:17], s8, v248, 0
	;; [unrolled: 1-line block ×4, first 2 shown]
	v_mov_b32_e32 v1, v4
	v_lshlrev_b64 v[0:1], 4, v[0:1]
	v_mov_b32_e32 v3, v5
	v_mov_b32_e32 v6, s3
	v_lshlrev_b64 v[2:3], 4, v[2:3]
	v_add_co_u32_e32 v0, vcc, s2, v0
	v_addc_co_u32_e32 v1, vcc, v6, v1, vcc
	v_add_co_u32_e32 v16, vcc, v0, v2
	v_addc_co_u32_e32 v17, vcc, v1, v3, vcc
	v_mov_b32_e32 v0, s15
	v_add_co_u32_e32 v70, vcc, s14, v140
	s_mul_i32 s2, s9, 0x210
	s_mul_hi_u32 s3, s8, 0x210
	v_addc_co_u32_e32 v71, vcc, 0, v0, vcc
	s_add_i32 s2, s3, s2
	s_mul_i32 s3, s8, 0x210
	v_mov_b32_e32 v0, s2
	v_add_co_u32_e32 v18, vcc, s3, v16
	v_addc_co_u32_e32 v19, vcc, v17, v0, vcc
	global_load_dwordx4 v[0:3], v[16:17], off
	global_load_dwordx4 v[4:7], v[18:19], off
	global_load_dwordx4 v[8:11], v140, s[14:15]
	global_load_dwordx4 v[12:15], v140, s[14:15] offset:528
	v_mov_b32_e32 v16, s2
	v_add_co_u32_e32 v32, vcc, s3, v18
	v_addc_co_u32_e32 v33, vcc, v19, v16, vcc
	v_add_co_u32_e32 v34, vcc, s3, v32
	v_addc_co_u32_e32 v35, vcc, v33, v16, vcc
	global_load_dwordx4 v[16:19], v[32:33], off
	global_load_dwordx4 v[20:23], v[34:35], off
	global_load_dwordx4 v[24:27], v140, s[14:15] offset:1056
	global_load_dwordx4 v[28:31], v140, s[14:15] offset:1584
	v_mov_b32_e32 v32, s2
	v_add_co_u32_e32 v36, vcc, s3, v34
	v_addc_co_u32_e32 v37, vcc, v35, v32, vcc
	v_mov_b32_e32 v38, s2
	v_add_co_u32_e32 v48, vcc, s3, v36
	global_load_dwordx4 v[32:35], v[36:37], off
	v_addc_co_u32_e32 v49, vcc, v37, v38, vcc
	global_load_dwordx4 v[36:39], v[48:49], off
	global_load_dwordx4 v[40:43], v140, s[14:15] offset:2112
	global_load_dwordx4 v[44:47], v140, s[14:15] offset:2640
	v_mov_b32_e32 v50, s2
	v_add_co_u32_e32 v52, vcc, s3, v48
	v_addc_co_u32_e32 v53, vcc, v49, v50, vcc
	v_mov_b32_e32 v54, s2
	v_add_co_u32_e32 v64, vcc, s3, v52
	v_addc_co_u32_e32 v65, vcc, v53, v54, vcc
	;; [unrolled: 3-line block ×3, first 2 shown]
	s_movk_i32 s8, 0x1000
	v_add_co_u32_e32 v104, vcc, s8, v70
	v_addc_co_u32_e32 v105, vcc, 0, v71, vcc
	v_mov_b32_e32 v70, s2
	v_add_co_u32_e32 v80, vcc, s3, v68
	v_addc_co_u32_e32 v81, vcc, v69, v70, vcc
	global_load_dwordx4 v[48:51], v[52:53], off
	v_mov_b32_e32 v82, s2
	v_add_co_u32_e32 v84, vcc, s3, v80
	global_load_dwordx4 v[52:55], v[64:65], off
	global_load_dwordx4 v[56:59], v140, s[14:15] offset:3168
	global_load_dwordx4 v[60:63], v140, s[14:15] offset:3696
	v_addc_co_u32_e32 v85, vcc, v81, v82, vcc
	global_load_dwordx4 v[64:67], v[68:69], off
	v_mov_b32_e32 v86, s2
	v_add_co_u32_e32 v96, vcc, s3, v84
	global_load_dwordx4 v[68:71], v[80:81], off
	global_load_dwordx4 v[72:75], v[104:105], off offset:128
	global_load_dwordx4 v[76:79], v[104:105], off offset:656
	v_addc_co_u32_e32 v97, vcc, v85, v86, vcc
	global_load_dwordx4 v[80:83], v[84:85], off
	v_mov_b32_e32 v98, s2
	v_add_co_u32_e32 v106, vcc, s3, v96
	global_load_dwordx4 v[84:87], v[96:97], off
	global_load_dwordx4 v[88:91], v[104:105], off offset:1184
	global_load_dwordx4 v[92:95], v[104:105], off offset:1712
	v_addc_co_u32_e32 v107, vcc, v97, v98, vcc
	global_load_dwordx4 v[96:99], v[106:107], off
	global_load_dwordx4 v[100:103], v[104:105], off offset:2240
	s_waitcnt vmcnt(23)
	v_mul_f64 v[104:105], v[2:3], v[10:11]
	v_mul_f64 v[10:11], v[0:1], v[10:11]
	v_fma_f64 v[0:1], v[0:1], v[8:9], v[104:105]
	v_fma_f64 v[2:3], v[2:3], v[8:9], -v[10:11]
	s_waitcnt vmcnt(22)
	v_mul_f64 v[8:9], v[6:7], v[14:15]
	v_mul_f64 v[10:11], v[4:5], v[14:15]
	s_waitcnt vmcnt(19)
	v_mul_f64 v[14:15], v[18:19], v[26:27]
	v_mul_f64 v[26:27], v[16:17], v[26:27]
	s_waitcnt vmcnt(18)
	v_mul_f64 v[104:105], v[22:23], v[30:31]
	v_mul_f64 v[30:31], v[20:21], v[30:31]
	v_fma_f64 v[4:5], v[4:5], v[12:13], v[8:9]
	v_fma_f64 v[6:7], v[6:7], v[12:13], -v[10:11]
	v_fma_f64 v[8:9], v[16:17], v[24:25], v[14:15]
	v_fma_f64 v[10:11], v[18:19], v[24:25], -v[26:27]
	s_waitcnt vmcnt(15)
	v_mul_f64 v[106:107], v[34:35], v[42:43]
	v_mul_f64 v[42:43], v[32:33], v[42:43]
	v_fma_f64 v[12:13], v[20:21], v[28:29], v[104:105]
	v_fma_f64 v[14:15], v[22:23], v[28:29], -v[30:31]
	v_lshlrev_b32_e32 v21, 4, v213
	v_lshl_add_u32 v20, v248, 4, v21
	ds_write_b128 v20, v[0:3]
	s_waitcnt vmcnt(14)
	v_mul_f64 v[0:1], v[38:39], v[46:47]
	v_fma_f64 v[16:17], v[32:33], v[40:41], v[106:107]
	v_fma_f64 v[18:19], v[34:35], v[40:41], -v[42:43]
	v_add_u32_e32 v32, v21, v140
	v_mul_f64 v[2:3], v[36:37], v[46:47]
	ds_write_b128 v32, v[4:7] offset:528
	ds_write_b128 v32, v[8:11] offset:1056
	;; [unrolled: 1-line block ×4, first 2 shown]
	v_fma_f64 v[0:1], v[36:37], v[44:45], v[0:1]
	v_fma_f64 v[2:3], v[38:39], v[44:45], -v[2:3]
	s_waitcnt vmcnt(11)
	v_mul_f64 v[4:5], v[50:51], v[58:59]
	v_mul_f64 v[6:7], v[48:49], v[58:59]
	s_waitcnt vmcnt(10)
	v_mul_f64 v[8:9], v[54:55], v[62:63]
	v_mul_f64 v[10:11], v[52:53], v[62:63]
	;; [unrolled: 3-line block ×4, first 2 shown]
	v_fma_f64 v[4:5], v[48:49], v[56:57], v[4:5]
	v_fma_f64 v[6:7], v[50:51], v[56:57], -v[6:7]
	v_fma_f64 v[8:9], v[52:53], v[60:61], v[8:9]
	s_waitcnt vmcnt(3)
	v_mul_f64 v[20:21], v[82:83], v[90:91]
	v_mul_f64 v[22:23], v[80:81], v[90:91]
	s_waitcnt vmcnt(2)
	v_mul_f64 v[24:25], v[86:87], v[94:95]
	v_mul_f64 v[26:27], v[84:85], v[94:95]
	;; [unrolled: 3-line block ×3, first 2 shown]
	v_fma_f64 v[10:11], v[54:55], v[60:61], -v[10:11]
	v_fma_f64 v[12:13], v[64:65], v[72:73], v[12:13]
	v_fma_f64 v[14:15], v[66:67], v[72:73], -v[14:15]
	v_fma_f64 v[16:17], v[68:69], v[76:77], v[16:17]
	;; [unrolled: 2-line block ×5, first 2 shown]
	v_fma_f64 v[30:31], v[98:99], v[100:101], -v[30:31]
	ds_write_b128 v32, v[0:3] offset:2640
	ds_write_b128 v32, v[4:7] offset:3168
	;; [unrolled: 1-line block ×8, first 2 shown]
.LBB0_3:
	s_or_b64 exec, exec, s[6:7]
	s_waitcnt vmcnt(0) lgkmcnt(0)
	s_barrier
	s_waitcnt lgkmcnt(0)
                                        ; implicit-def: $vgpr4_vgpr5
                                        ; implicit-def: $vgpr8_vgpr9
                                        ; implicit-def: $vgpr12_vgpr13
                                        ; implicit-def: $vgpr16_vgpr17
                                        ; implicit-def: $vgpr20_vgpr21
                                        ; implicit-def: $vgpr24_vgpr25
                                        ; implicit-def: $vgpr28_vgpr29
                                        ; implicit-def: $vgpr32_vgpr33
                                        ; implicit-def: $vgpr40_vgpr41
                                        ; implicit-def: $vgpr44_vgpr45
                                        ; implicit-def: $vgpr48_vgpr49
                                        ; implicit-def: $vgpr52_vgpr53
                                        ; implicit-def: $vgpr56_vgpr57
	s_and_saveexec_b64 s[2:3], s[0:1]
	s_cbranch_execz .LBB0_5
; %bb.4:
	v_lshl_add_u32 v0, v213, 4, v140
	ds_read_b128 v[4:7], v0
	ds_read_b128 v[8:11], v0 offset:528
	ds_read_b128 v[12:15], v0 offset:1056
	;; [unrolled: 1-line block ×12, first 2 shown]
.LBB0_5:
	s_or_b64 exec, exec, s[2:3]
	s_waitcnt lgkmcnt(0)
	v_add_f64 v[114:115], v[8:9], -v[56:57]
	s_mov_b32 s22, 0x42a4c3d2
	s_mov_b32 s23, 0xbfea55e2
	v_add_f64 v[100:101], v[10:11], v[58:59]
	v_add_f64 v[138:139], v[12:13], -v[52:53]
	s_mov_b32 s24, 0x4267c47c
	s_mov_b32 s10, 0x1ea71119
	;; [unrolled: 1-line block ×3, first 2 shown]
	v_mul_f64 v[136:137], v[114:115], s[22:23]
	s_mov_b32 s25, 0xbfddbe06
	s_mov_b32 s11, 0x3fe22d96
	s_mov_b32 s21, 0xbfedeba7
	v_mul_f64 v[70:71], v[114:115], s[24:25]
	v_add_f64 v[110:111], v[14:15], v[54:55]
	v_add_f64 v[143:144], v[16:17], -v[48:49]
	v_mul_f64 v[112:113], v[138:139], s[20:21]
	v_fma_f64 v[60:61], v[100:101], s[10:11], -v[136:137]
	s_mov_b32 s2, 0xe00740e9
	s_mov_b32 s18, 0xb2365da1
	;; [unrolled: 1-line block ×6, first 2 shown]
	v_fma_f64 v[2:3], v[100:101], s[2:3], -v[70:71]
	v_mul_f64 v[74:75], v[138:139], s[22:23]
	v_add_f64 v[124:125], v[18:19], v[50:51]
	v_add_f64 v[153:154], v[20:21], -v[44:45]
	v_add_f64 v[60:61], v[6:7], v[60:61]
	v_fma_f64 v[64:65], v[110:111], s[18:19], -v[112:113]
	v_mul_f64 v[116:117], v[143:144], s[42:43]
	s_mov_b32 s30, 0x66966769
	s_mov_b32 s36, 0x24c2f84
	;; [unrolled: 1-line block ×6, first 2 shown]
	v_add_f64 v[149:150], v[10:11], -v[58:59]
	v_add_f64 v[2:3], v[6:7], v[2:3]
	v_fma_f64 v[38:39], v[110:111], s[10:11], -v[74:75]
	v_mul_f64 v[78:79], v[143:144], s[30:31]
	v_add_f64 v[128:129], v[22:23], v[46:47]
	v_add_f64 v[175:176], v[24:25], -v[40:41]
	v_add_f64 v[60:61], v[64:65], v[60:61]
	v_fma_f64 v[64:65], v[124:125], s[28:29], -v[116:117]
	v_mul_f64 v[118:119], v[153:154], s[36:37]
	s_mov_b32 s16, 0xebaa3ed8
	s_mov_b32 s26, 0xd0032e0c
	;; [unrolled: 1-line block ×6, first 2 shown]
	v_add_f64 v[98:99], v[8:9], v[56:57]
	v_mul_f64 v[68:69], v[149:150], s[24:25]
	v_add_f64 v[173:174], v[14:15], -v[54:55]
	v_add_f64 v[2:3], v[38:39], v[2:3]
	v_fma_f64 v[38:39], v[124:125], s[16:17], -v[78:79]
	v_mul_f64 v[82:83], v[153:154], s[20:21]
	v_add_f64 v[161:162], v[26:27], v[42:43]
	v_add_f64 v[60:61], v[64:65], v[60:61]
	v_fma_f64 v[64:65], v[128:129], s[26:27], -v[118:119]
	v_mul_f64 v[120:121], v[175:176], s[40:41]
	v_mul_f64 v[134:135], v[149:150], s[30:31]
	;; [unrolled: 1-line block ×3, first 2 shown]
	v_fma_f64 v[0:1], v[98:99], s[2:3], v[68:69]
	v_add_f64 v[108:109], v[12:13], v[52:53]
	v_mul_f64 v[72:73], v[173:174], s[22:23]
	v_add_f64 v[177:178], v[18:19], -v[50:51]
	v_add_f64 v[2:3], v[38:39], v[2:3]
	v_fma_f64 v[38:39], v[128:129], s[18:19], -v[82:83]
	v_mul_f64 v[88:89], v[149:150], s[22:23]
	v_add_f64 v[60:61], v[64:65], v[60:61]
	v_fma_f64 v[64:65], v[161:162], s[16:17], -v[120:121]
	v_fma_f64 v[145:146], v[98:99], s[16:17], v[134:135]
	v_mul_f64 v[141:142], v[173:174], s[42:43]
	v_fma_f64 v[147:148], v[100:101], s[16:17], -v[181:182]
	v_mul_f64 v[179:180], v[138:139], s[42:43]
	v_mul_f64 v[195:196], v[149:150], s[20:21]
	;; [unrolled: 1-line block ×3, first 2 shown]
	s_mov_b32 s45, 0x3fedeba7
	s_mov_b32 s44, s20
	v_add_f64 v[0:1], v[4:5], v[0:1]
	v_fma_f64 v[36:37], v[108:109], s[10:11], v[72:73]
	v_add_f64 v[122:123], v[16:17], v[48:49]
	v_mul_f64 v[76:77], v[177:178], s[30:31]
	v_add_f64 v[183:184], v[22:23], -v[46:47]
	v_add_f64 v[2:3], v[38:39], v[2:3]
	v_fma_f64 v[38:39], v[98:99], s[10:11], v[88:89]
	v_mul_f64 v[94:95], v[173:174], s[20:21]
	v_add_f64 v[60:61], v[64:65], v[60:61]
	v_add_f64 v[64:65], v[4:5], v[145:146]
	v_fma_f64 v[155:156], v[108:109], s[28:29], v[141:142]
	v_add_f64 v[147:148], v[6:7], v[147:148]
	v_fma_f64 v[157:158], v[110:111], s[28:29], -v[179:180]
	v_mul_f64 v[151:152], v[143:144], s[44:45]
	v_fma_f64 v[167:168], v[98:99], s[18:19], v[195:196]
	v_mul_f64 v[193:194], v[173:174], s[36:37]
	v_fma_f64 v[169:170], v[100:101], s[18:19], -v[209:210]
	v_mul_f64 v[207:208], v[138:139], s[36:37]
	s_mov_b32 s39, 0x3fddbe06
	s_mov_b32 s38, s24
	v_add_f64 v[0:1], v[36:37], v[0:1]
	v_fma_f64 v[36:37], v[122:123], s[16:17], v[76:77]
	v_add_f64 v[126:127], v[20:21], v[44:45]
	v_mul_f64 v[80:81], v[183:184], s[20:21]
	v_add_f64 v[185:186], v[26:27], -v[42:43]
	v_add_f64 v[38:39], v[4:5], v[38:39]
	v_fma_f64 v[62:63], v[108:109], s[18:19], v[94:95]
	v_mul_f64 v[96:97], v[177:178], s[42:43]
	v_mul_f64 v[145:146], v[177:178], s[44:45]
	v_add_f64 v[64:65], v[155:156], v[64:65]
	v_add_f64 v[157:158], v[157:158], v[147:148]
	v_fma_f64 v[189:190], v[124:125], s[18:19], -v[151:152]
	v_mul_f64 v[155:156], v[153:154], s[38:39]
	v_add_f64 v[167:168], v[4:5], v[167:168]
	v_fma_f64 v[191:192], v[108:109], s[26:27], v[193:194]
	v_add_f64 v[169:170], v[6:7], v[169:170]
	v_fma_f64 v[197:198], v[110:111], s[26:27], -v[207:208]
	v_mul_f64 v[199:200], v[177:178], s[38:39]
	v_mul_f64 v[211:212], v[143:144], s[38:39]
	s_mov_b32 s35, 0xbfe5384d
	s_mov_b32 s34, s36
	v_add_f64 v[0:1], v[36:37], v[0:1]
	v_fma_f64 v[36:37], v[126:127], s[18:19], v[80:81]
	v_add_f64 v[132:133], v[24:25], v[40:41]
	v_mul_f64 v[84:85], v[185:186], s[34:35]
	v_add_f64 v[38:39], v[62:63], v[38:39]
	v_fma_f64 v[62:63], v[122:123], s[28:29], v[96:97]
	v_mul_f64 v[102:103], v[183:184], s[36:37]
	v_fma_f64 v[171:172], v[122:123], s[18:19], v[145:146]
	v_mul_f64 v[147:148], v[183:184], s[38:39]
	v_add_f64 v[157:158], v[189:190], v[157:158]
	v_fma_f64 v[189:190], v[128:129], s[2:3], -v[155:156]
	v_add_f64 v[167:168], v[191:192], v[167:168]
	v_add_f64 v[191:192], v[197:198], v[169:170]
	v_fma_f64 v[201:202], v[122:123], s[2:3], v[199:200]
	v_fma_f64 v[205:206], v[124:125], s[2:3], -v[211:212]
	v_mul_f64 v[197:198], v[183:184], s[30:31]
	v_mul_f64 v[203:204], v[153:154], s[30:31]
	s_mov_b32 s47, 0x3fcea1e5
	s_mov_b32 s46, s42
	v_add_f64 v[0:1], v[36:37], v[0:1]
	v_fma_f64 v[36:37], v[132:133], s[26:27], v[84:85]
	v_mul_f64 v[86:87], v[175:176], s[34:35]
	v_add_f64 v[165:166], v[30:31], -v[34:35]
	v_add_f64 v[187:188], v[28:29], -v[32:33]
	v_add_f64 v[38:39], v[62:63], v[38:39]
	v_fma_f64 v[62:63], v[126:127], s[26:27], v[102:103]
	v_mul_f64 v[104:105], v[185:186], s[40:41]
	v_add_f64 v[64:65], v[171:172], v[64:65]
	v_fma_f64 v[171:172], v[126:127], s[2:3], v[147:148]
	v_add_f64 v[216:217], v[189:190], v[157:158]
	v_mul_f64 v[157:158], v[185:186], s[22:23]
	v_mul_f64 v[169:170], v[175:176], s[22:23]
	v_add_f64 v[218:219], v[201:202], v[167:168]
	v_add_f64 v[191:192], v[205:206], v[191:192]
	v_fma_f64 v[205:206], v[126:127], s[16:17], v[197:198]
	v_fma_f64 v[220:221], v[128:129], s[16:17], -v[203:204]
	v_mul_f64 v[189:190], v[185:186], s[46:47]
	v_mul_f64 v[201:202], v[175:176], s[46:47]
	s_mov_b32 s49, 0x3fea55e2
	s_mov_b32 s48, s22
	v_add_f64 v[0:1], v[36:37], v[0:1]
	v_fma_f64 v[36:37], v[161:162], s[26:27], -v[86:87]
	v_add_f64 v[159:160], v[28:29], v[32:33]
	v_mul_f64 v[90:91], v[165:166], s[42:43]
	v_add_f64 v[163:164], v[30:31], v[34:35]
	v_mul_f64 v[92:93], v[187:188], s[42:43]
	v_add_f64 v[38:39], v[62:63], v[38:39]
	v_fma_f64 v[62:63], v[132:133], s[16:17], v[104:105]
	v_mul_f64 v[106:107], v[165:166], s[38:39]
	v_mul_f64 v[130:131], v[187:188], s[38:39]
	v_add_f64 v[64:65], v[171:172], v[64:65]
	v_fma_f64 v[222:223], v[132:133], s[10:11], v[157:158]
	v_fma_f64 v[224:225], v[161:162], s[10:11], -v[169:170]
	v_mul_f64 v[167:168], v[165:166], s[34:35]
	v_mul_f64 v[171:172], v[187:188], s[34:35]
	v_add_f64 v[218:219], v[205:206], v[218:219]
	v_add_f64 v[220:221], v[220:221], v[191:192]
	v_fma_f64 v[226:227], v[132:133], s[28:29], v[189:190]
	v_fma_f64 v[228:229], v[161:162], s[28:29], -v[201:202]
	v_mul_f64 v[191:192], v[165:166], s[48:49]
	v_mul_f64 v[205:206], v[187:188], s[48:49]
	v_add_f64 v[2:3], v[36:37], v[2:3]
	v_fma_f64 v[36:37], v[159:160], s[28:29], v[90:91]
	v_fma_f64 v[66:67], v[163:164], s[28:29], -v[92:93]
	v_add_f64 v[38:39], v[62:63], v[38:39]
	v_fma_f64 v[62:63], v[159:160], s[2:3], v[106:107]
	v_fma_f64 v[214:215], v[163:164], s[2:3], -v[130:131]
	v_add_f64 v[222:223], v[222:223], v[64:65]
	v_add_f64 v[216:217], v[224:225], v[216:217]
	v_fma_f64 v[224:225], v[159:160], s[26:27], v[167:168]
	v_fma_f64 v[230:231], v[163:164], s[26:27], -v[171:172]
	v_add_f64 v[218:219], v[226:227], v[218:219]
	;; [unrolled: 4-line block ×3, first 2 shown]
	v_add_f64 v[234:235], v[66:67], v[2:3]
	v_add_f64 v[64:65], v[62:63], v[38:39]
	v_add_f64 v[66:67], v[214:215], v[60:61]
	v_add_f64 v[60:61], v[224:225], v[222:223]
	v_add_f64 v[62:63], v[230:231], v[216:217]
	v_add_f64 v[36:37], v[226:227], v[218:219]
	v_add_f64 v[38:39], v[228:229], v[220:221]
	s_load_dwordx2 s[6:7], s[4:5], 0x20
	s_load_dwordx2 s[8:9], s[4:5], 0x8
	v_mul_lo_u16_e32 v0, 13, v248
	s_waitcnt lgkmcnt(0)
	s_barrier
	buffer_store_dword v0, off, s[52:55], 0 offset:68 ; 4-byte Folded Spill
	s_and_saveexec_b64 s[4:5], s[0:1]
	s_cbranch_execz .LBB0_7
; %bb.6:
	v_mul_f64 v[214:215], v[100:101], s[28:29]
	v_mul_f64 v[216:217], v[149:150], s[42:43]
	;; [unrolled: 1-line block ×3, first 2 shown]
	v_mov_b32_e32 v0, v232
	v_mul_f64 v[222:223], v[173:174], s[38:39]
	v_mul_f64 v[228:229], v[124:125], s[26:27]
	v_mov_b32_e32 v1, v233
	v_mov_b32_e32 v2, v234
	v_fma_f64 v[220:221], v[114:115], s[46:47], v[214:215]
	v_fma_f64 v[224:225], v[98:99], s[28:29], v[216:217]
	v_mov_b32_e32 v3, v235
	v_fma_f64 v[234:235], v[138:139], s[24:25], v[218:219]
	v_mul_f64 v[230:231], v[177:178], s[34:35]
	v_fma_f64 v[236:237], v[108:109], s[2:3], v[222:223]
	v_mul_f64 v[238:239], v[128:129], s[10:11]
	v_fma_f64 v[214:215], v[114:115], s[42:43], v[214:215]
	v_add_f64 v[220:221], v[6:7], v[220:221]
	v_add_f64 v[224:225], v[4:5], v[224:225]
	v_fma_f64 v[242:243], v[143:144], s[36:37], v[228:229]
	v_fma_f64 v[216:217], v[98:99], s[28:29], -v[216:217]
	v_mul_f64 v[232:233], v[161:162], s[18:19]
	v_mul_f64 v[240:241], v[183:184], s[48:49]
	v_fma_f64 v[218:219], v[138:139], s[38:39], v[218:219]
	v_add_f64 v[214:215], v[6:7], v[214:215]
	v_add_f64 v[220:221], v[234:235], v[220:221]
	v_fma_f64 v[234:235], v[122:123], s[26:27], v[230:231]
	v_add_f64 v[224:225], v[236:237], v[224:225]
	v_fma_f64 v[222:223], v[108:109], s[2:3], -v[222:223]
	v_add_f64 v[216:217], v[4:5], v[216:217]
	v_mul_f64 v[226:227], v[163:164], s[16:17]
	v_mul_f64 v[236:237], v[185:186], s[20:21]
	v_fma_f64 v[228:229], v[143:144], s[34:35], v[228:229]
	v_add_f64 v[220:221], v[242:243], v[220:221]
	v_fma_f64 v[242:243], v[153:154], s[22:23], v[238:239]
	v_add_f64 v[224:225], v[234:235], v[224:225]
	;; [unrolled: 2-line block ×3, first 2 shown]
	v_add_f64 v[216:217], v[222:223], v[216:217]
	v_fma_f64 v[222:223], v[175:176], s[44:45], v[232:233]
	v_mul_f64 v[218:219], v[165:166], s[40:41]
	v_mul_f64 v[149:150], v[149:150], s[34:35]
	v_add_f64 v[220:221], v[242:243], v[220:221]
	v_fma_f64 v[242:243], v[132:133], s[18:19], v[236:237]
	v_add_f64 v[224:225], v[234:235], v[224:225]
	v_add_f64 v[228:229], v[228:229], v[214:215]
	v_fma_f64 v[214:215], v[122:123], s[26:27], -v[230:231]
	v_mul_f64 v[244:245], v[100:101], s[26:27]
	v_fma_f64 v[230:231], v[159:160], s[16:17], v[218:219]
	v_mul_f64 v[173:174], v[173:174], s[40:41]
	v_add_f64 v[220:221], v[222:223], v[220:221]
	v_fma_f64 v[222:223], v[187:188], s[30:31], v[226:227]
	v_add_f64 v[224:225], v[242:243], v[224:225]
	v_fma_f64 v[238:239], v[153:154], s[48:49], v[238:239]
	v_fma_f64 v[240:241], v[126:127], s[10:11], -v[240:241]
	v_add_f64 v[242:243], v[214:215], v[216:217]
	v_mul_f64 v[234:235], v[110:111], s[16:17]
	v_fma_f64 v[246:247], v[114:115], s[36:37], v[244:245]
	v_mul_f64 v[177:178], v[177:178], s[22:23]
	v_add_f64 v[216:217], v[222:223], v[220:221]
	v_fma_f64 v[220:221], v[98:99], s[26:27], v[149:150]
	v_add_f64 v[214:215], v[230:231], v[224:225]
	v_fma_f64 v[222:223], v[175:176], s[20:21], v[232:233]
	v_add_f64 v[224:225], v[238:239], v[228:229]
	v_add_f64 v[238:239], v[240:241], v[242:243]
	v_fma_f64 v[240:241], v[108:109], s[16:17], v[173:174]
	v_fma_f64 v[226:227], v[187:188], s[40:41], v[226:227]
	v_mul_f64 v[228:229], v[124:125], s[10:11]
	v_add_f64 v[220:221], v[4:5], v[220:221]
	v_fma_f64 v[230:231], v[138:139], s[30:31], v[234:235]
	v_add_f64 v[232:233], v[6:7], v[246:247]
	v_add_f64 v[222:223], v[222:223], v[224:225]
	v_fma_f64 v[242:243], v[122:123], s[10:11], v[177:178]
	v_mul_f64 v[183:184], v[183:184], s[46:47]
	v_fma_f64 v[114:115], v[114:115], s[34:35], v[244:245]
	v_fma_f64 v[236:237], v[132:133], s[18:19], -v[236:237]
	v_add_f64 v[240:241], v[240:241], v[220:221]
	v_mul_f64 v[224:225], v[128:129], s[28:29]
	v_add_f64 v[230:231], v[230:231], v[232:233]
	v_fma_f64 v[232:233], v[143:144], s[48:49], v[228:229]
	v_add_f64 v[220:221], v[226:227], v[222:223]
	v_fma_f64 v[226:227], v[126:127], s[28:29], v[183:184]
	v_fma_f64 v[138:139], v[138:139], s[40:41], v[234:235]
	v_add_f64 v[114:115], v[6:7], v[114:115]
	v_add_f64 v[222:223], v[242:243], v[240:241]
	;; [unrolled: 1-line block ×3, first 2 shown]
	v_mul_f64 v[238:239], v[161:162], s[2:3]
	v_add_f64 v[230:231], v[232:233], v[230:231]
	v_fma_f64 v[232:233], v[153:154], s[42:43], v[224:225]
	v_mul_f64 v[240:241], v[100:101], s[2:3]
	v_fma_f64 v[149:150], v[98:99], s[26:27], -v[149:150]
	v_fma_f64 v[143:144], v[143:144], s[22:23], v[228:229]
	v_add_f64 v[222:223], v[226:227], v[222:223]
	v_mul_f64 v[226:227], v[100:101], s[10:11]
	v_mul_f64 v[228:229], v[100:101], s[16:17]
	;; [unrolled: 1-line block ×3, first 2 shown]
	v_add_f64 v[114:115], v[138:139], v[114:115]
	v_fma_f64 v[218:219], v[159:160], s[16:17], -v[218:219]
	v_fma_f64 v[242:243], v[175:176], s[24:25], v[238:239]
	v_add_f64 v[230:231], v[232:233], v[230:231]
	v_mul_f64 v[185:186], v[185:186], s[38:39]
	v_fma_f64 v[173:174], v[108:109], s[16:17], -v[173:174]
	v_add_f64 v[149:150], v[4:5], v[149:150]
	v_fma_f64 v[153:154], v[153:154], s[46:47], v[224:225]
	v_add_f64 v[114:115], v[143:144], v[114:115]
	v_add_f64 v[100:101], v[209:210], v[100:101]
	v_mul_f64 v[209:210], v[110:111], s[26:27]
	v_add_f64 v[218:219], v[218:219], v[236:237]
	v_mul_f64 v[236:237], v[98:99], s[2:3]
	v_mul_f64 v[232:233], v[98:99], s[10:11]
	;; [unrolled: 1-line block ×3, first 2 shown]
	v_add_f64 v[230:231], v[242:243], v[230:231]
	v_fma_f64 v[242:243], v[132:133], s[2:3], v[185:186]
	v_mul_f64 v[98:99], v[98:99], s[18:19]
	v_mul_f64 v[138:139], v[163:164], s[18:19]
	v_add_f64 v[149:150], v[173:174], v[149:150]
	v_fma_f64 v[177:178], v[122:123], s[10:11], -v[177:178]
	v_add_f64 v[114:115], v[153:154], v[114:115]
	v_fma_f64 v[153:154], v[126:127], s[28:29], -v[183:184]
	v_mul_f64 v[183:184], v[124:125], s[2:3]
	v_add_f64 v[207:208], v[207:208], v[209:210]
	v_add_f64 v[100:101], v[6:7], v[100:101]
	;; [unrolled: 1-line block ×3, first 2 shown]
	v_mul_f64 v[242:243], v[108:109], s[10:11]
	v_fma_f64 v[143:144], v[187:188], s[44:45], v[138:139]
	v_fma_f64 v[138:139], v[187:188], s[20:21], v[138:139]
	v_mul_f64 v[187:188], v[108:109], s[18:19]
	v_fma_f64 v[175:176], v[175:176], s[38:39], v[238:239]
	v_mul_f64 v[238:239], v[108:109], s[28:29]
	v_mul_f64 v[108:109], v[108:109], s[26:27]
	v_add_f64 v[149:150], v[177:178], v[149:150]
	v_add_f64 v[183:184], v[211:212], v[183:184]
	v_mul_f64 v[211:212], v[128:129], s[16:17]
	v_add_f64 v[100:101], v[207:208], v[100:101]
	v_add_f64 v[98:99], v[98:99], -v[195:196]
	v_mul_f64 v[177:178], v[122:123], s[16:17]
	v_add_f64 v[114:115], v[175:176], v[114:115]
	v_mul_f64 v[175:176], v[122:123], s[28:29]
	v_add_f64 v[149:150], v[153:154], v[149:150]
	v_mul_f64 v[207:208], v[122:123], s[18:19]
	v_fma_f64 v[185:186], v[132:133], s[2:3], -v[185:186]
	v_mul_f64 v[122:123], v[122:123], s[2:3]
	v_add_f64 v[203:204], v[203:204], v[211:212]
	v_mul_f64 v[211:212], v[161:162], s[28:29]
	v_add_f64 v[100:101], v[183:184], v[100:101]
	v_add_f64 v[108:109], v[108:109], -v[193:194]
	v_add_f64 v[98:99], v[4:5], v[98:99]
	v_mul_f64 v[195:196], v[126:127], s[18:19]
	v_add_f64 v[149:150], v[185:186], v[149:150]
	v_mul_f64 v[185:186], v[126:127], s[26:27]
	v_add_f64 v[122:123], v[122:123], -v[199:200]
	v_add_f64 v[201:202], v[201:202], v[211:212]
	v_mul_f64 v[211:212], v[163:164], s[10:11]
	v_mul_f64 v[199:200], v[126:127], s[2:3]
	;; [unrolled: 1-line block ×3, first 2 shown]
	v_add_f64 v[98:99], v[108:109], v[98:99]
	v_add_f64 v[100:101], v[203:204], v[100:101]
	v_mul_f64 v[224:225], v[110:111], s[10:11]
	v_mul_f64 v[173:174], v[110:111], s[18:19]
	;; [unrolled: 1-line block ×3, first 2 shown]
	v_add_f64 v[205:206], v[205:206], v[211:212]
	v_add_f64 v[181:182], v[181:182], v[228:229]
	v_add_f64 v[108:109], v[126:127], -v[197:198]
	v_add_f64 v[98:99], v[122:123], v[98:99]
	v_add_f64 v[100:101], v[201:202], v[100:101]
	;; [unrolled: 1-line block ×4, first 2 shown]
	v_mul_f64 v[209:210], v[124:125], s[16:17]
	v_mul_f64 v[153:154], v[124:125], s[28:29]
	;; [unrolled: 1-line block ×3, first 2 shown]
	v_add_f64 v[110:111], v[179:180], v[110:111]
	v_add_f64 v[228:229], v[108:109], v[98:99]
	;; [unrolled: 1-line block ×8, first 2 shown]
	v_mul_f64 v[183:184], v[128:129], s[18:19]
	v_mul_f64 v[193:194], v[128:129], s[26:27]
	;; [unrolled: 1-line block ×3, first 2 shown]
	v_add_f64 v[124:125], v[151:152], v[124:125]
	v_add_f64 v[134:135], v[234:235], -v[134:135]
	v_add_f64 v[110:111], v[110:111], v[138:139]
	v_add_f64 v[112:113], v[112:113], v[173:174]
	;; [unrolled: 1-line block ×5, first 2 shown]
	v_mul_f64 v[203:204], v[161:162], s[26:27]
	v_mul_f64 v[126:127], v[161:162], s[16:17]
	;; [unrolled: 1-line block ×3, first 2 shown]
	v_add_f64 v[12:13], v[155:156], v[128:129]
	v_add_f64 v[14:15], v[238:239], -v[141:142]
	v_add_f64 v[128:129], v[4:5], v[134:135]
	v_add_f64 v[110:111], v[124:125], v[110:111]
	;; [unrolled: 1-line block ×7, first 2 shown]
	v_add_f64 v[18:19], v[207:208], -v[145:146]
	v_add_f64 v[14:15], v[14:15], v[128:129]
	v_add_f64 v[12:13], v[12:13], v[110:111]
	;; [unrolled: 1-line block ×7, first 2 shown]
	v_mul_f64 v[244:245], v[132:133], s[26:27]
	v_add_f64 v[14:15], v[18:19], v[14:15]
	v_add_f64 v[12:13], v[16:17], v[12:13]
	;; [unrolled: 1-line block ×6, first 2 shown]
	v_add_f64 v[28:29], v[232:233], -v[88:89]
	v_add_f64 v[6:7], v[6:7], v[70:71]
	v_add_f64 v[70:71], v[242:243], -v[72:73]
	v_add_f64 v[30:31], v[187:188], -v[94:95]
	v_mul_f64 v[122:123], v[132:133], s[28:29]
	v_add_f64 v[16:17], v[16:17], v[18:19]
	v_add_f64 v[18:19], v[236:237], -v[68:69]
	v_add_f64 v[10:11], v[10:11], v[34:35]
	v_add_f64 v[8:9], v[8:9], v[32:33]
	;; [unrolled: 1-line block ×4, first 2 shown]
	v_add_f64 v[34:35], v[177:178], -v[76:77]
	v_mul_f64 v[211:212], v[132:133], s[16:17]
	v_mul_f64 v[132:133], v[132:133], s[10:11]
	v_add_f64 v[18:19], v[4:5], v[18:19]
	v_add_f64 v[4:5], v[4:5], v[28:29]
	;; [unrolled: 1-line block ×5, first 2 shown]
	v_add_f64 v[28:29], v[175:176], -v[96:97]
	v_add_f64 v[40:41], v[82:83], v[183:184]
	v_mul_f64 v[201:202], v[159:160], s[10:11]
	v_add_f64 v[18:19], v[70:71], v[18:19]
	v_add_f64 v[4:5], v[30:31], v[4:5]
	;; [unrolled: 1-line block ×5, first 2 shown]
	v_add_f64 v[32:33], v[195:196], -v[80:81]
	v_add_f64 v[30:31], v[185:186], -v[102:103]
	v_mul_f64 v[165:166], v[165:166], s[20:21]
	v_add_f64 v[18:19], v[34:35], v[18:19]
	v_add_f64 v[4:5], v[28:29], v[4:5]
	v_add_f64 v[22:23], v[199:200], -v[147:148]
	v_mul_f64 v[179:180], v[163:164], s[2:3]
	v_add_f64 v[10:11], v[10:11], v[50:51]
	v_add_f64 v[8:9], v[8:9], v[48:49]
	v_mul_f64 v[197:198], v[159:160], s[28:29]
	v_add_f64 v[122:123], v[122:123], -v[189:190]
	v_mul_f64 v[189:190], v[163:164], s[28:29]
	v_mul_f64 v[163:164], v[163:164], s[26:27]
	v_add_f64 v[34:35], v[86:87], v[203:204]
	v_add_f64 v[6:7], v[40:41], v[6:7]
	v_add_f64 v[40:41], v[244:245], -v[84:85]
	v_add_f64 v[18:19], v[32:33], v[18:19]
	v_mul_f64 v[246:247], v[159:160], s[2:3]
	v_add_f64 v[28:29], v[211:212], -v[104:105]
	v_add_f64 v[4:5], v[30:31], v[4:5]
	v_add_f64 v[191:192], v[201:202], -v[191:192]
	v_fma_f64 v[201:202], v[159:160], s[18:19], v[165:166]
	v_fma_f64 v[165:166], v[159:160], s[18:19], -v[165:166]
	v_mul_f64 v[159:160], v[159:160], s[26:27]
	v_add_f64 v[26:27], v[132:133], -v[157:158]
	v_add_f64 v[14:15], v[22:23], v[14:15]
	v_add_f64 v[22:23], v[130:131], v[179:180]
	;; [unrolled: 1-line block ×7, first 2 shown]
	v_add_f64 v[42:43], v[197:198], -v[90:91]
	v_add_f64 v[40:41], v[40:41], v[18:19]
	v_add_f64 v[30:31], v[246:247], -v[106:107]
	v_add_f64 v[4:5], v[28:29], v[4:5]
	;; [unrolled: 2-line block ×3, first 2 shown]
	v_add_f64 v[122:123], v[122:123], v[228:229]
	v_add_f64 v[10:11], v[22:23], v[16:17]
	;; [unrolled: 1-line block ×10, first 2 shown]
	v_mov_b32_e32 v235, v3
	v_add_f64 v[106:107], v[165:166], v[149:150]
	v_mov_b32_e32 v234, v2
	v_mov_b32_e32 v233, v1
	;; [unrolled: 1-line block ×3, first 2 shown]
	v_mul_lo_u16_e32 v0, 13, v248
	v_add_lshl_u32 v0, v213, v0, 4
	v_add_f64 v[98:99], v[143:144], v[230:231]
	v_add_f64 v[96:97], v[201:202], v[222:223]
	ds_write_b128 v0, v[16:19]
	ds_write_b128 v0, v[12:15] offset:16
	ds_write_b128 v0, v[8:11] offset:32
	;; [unrolled: 1-line block ×12, first 2 shown]
.LBB0_7:
	s_or_b64 exec, exec, s[4:5]
	v_add_lshl_u32 v255, v213, v248, 4
	s_waitcnt vmcnt(0) lgkmcnt(0)
	s_barrier
	ds_read_b128 v[44:47], v255
	ds_read_b128 v[40:43], v255 offset:624
	ds_read_b128 v[68:71], v255 offset:4576
	;; [unrolled: 1-line block ×8, first 2 shown]
	v_cmp_gt_u16_e64 s[2:3], 26, v248
	s_and_saveexec_b64 s[4:5], s[2:3]
	s_cbranch_execz .LBB0_9
; %bb.8:
	ds_read_b128 v[36:39], v255 offset:1872
	ds_read_b128 v[60:63], v255 offset:4160
	;; [unrolled: 1-line block ×3, first 2 shown]
.LBB0_9:
	s_or_b64 exec, exec, s[4:5]
	s_movk_i32 s4, 0x4f
	v_mul_lo_u16_sdwa v0, v248, s4 dst_sel:DWORD dst_unused:UNUSED_PAD src0_sel:BYTE_0 src1_sel:DWORD
	v_lshrrev_b16_e32 v0, 10, v0
	v_mul_lo_u16_e32 v1, 13, v0
	v_sub_u16_e32 v1, v248, v1
	v_mov_b32_e32 v2, 5
	v_lshlrev_b32_sdwa v3, v2, v1 dst_sel:DWORD dst_unused:UNUSED_PAD src0_sel:DWORD src1_sel:BYTE_0
	global_load_dwordx4 v[221:224], v3, s[8:9] offset:16
	global_load_dwordx4 v[236:239], v3, s[8:9]
	v_add_u16_e32 v3, 39, v248
	v_mul_lo_u16_sdwa v4, v3, s4 dst_sel:DWORD dst_unused:UNUSED_PAD src0_sel:BYTE_0 src1_sel:DWORD
	v_lshrrev_b16_e32 v4, 10, v4
	v_mul_lo_u16_e32 v5, 13, v4
	v_sub_u16_e32 v3, v3, v5
	v_lshlrev_b32_sdwa v5, v2, v3 dst_sel:DWORD dst_unused:UNUSED_PAD src0_sel:DWORD src1_sel:BYTE_0
	global_load_dwordx4 v[240:243], v5, s[8:9] offset:16
	global_load_dwordx4 v[10:13], v5, s[8:9]
	v_add_u16_e32 v5, 0x4e, v248
	v_mul_lo_u16_sdwa v6, v5, s4 dst_sel:DWORD dst_unused:UNUSED_PAD src0_sel:BYTE_0 src1_sel:DWORD
	v_lshrrev_b16_e32 v6, 10, v6
	v_mul_lo_u16_e32 v7, 13, v6
	v_sub_u16_e32 v5, v5, v7
	v_lshlrev_b32_sdwa v7, v2, v5 dst_sel:DWORD dst_unused:UNUSED_PAD src0_sel:DWORD src1_sel:BYTE_0
	global_load_dwordx4 v[14:17], v7, s[8:9] offset:16
	global_load_dwordx4 v[18:21], v7, s[8:9]
	v_add_u16_e32 v7, 0x75, v248
	v_mul_lo_u16_sdwa v8, v7, s4 dst_sel:DWORD dst_unused:UNUSED_PAD src0_sel:BYTE_0 src1_sel:DWORD
	v_lshrrev_b16_e32 v8, 10, v8
	v_mul_lo_u16_e32 v9, 13, v8
	v_sub_u16_e32 v244, v7, v9
	v_lshlrev_b32_sdwa v2, v2, v244 dst_sel:DWORD dst_unused:UNUSED_PAD src0_sel:DWORD src1_sel:BYTE_0
	global_load_dwordx4 v[197:200], v2, s[8:9]
	global_load_dwordx4 v[189:192], v2, s[8:9] offset:16
	s_load_dwordx4 s[4:7], s[6:7], 0x0
	s_mov_b32 s10, 0xe8584caa
	s_mov_b32 s11, 0x3febb67a
	;; [unrolled: 1-line block ×4, first 2 shown]
	v_mul_u32_u24_e32 v0, 39, v0
	v_add_u32_sdwa v0, v0, v1 dst_sel:DWORD dst_unused:UNUSED_PAD src0_sel:DWORD src1_sel:BYTE_0
	v_add_lshl_u32 v193, v213, v0, 4
	v_mul_u32_u24_e32 v0, 39, v4
	v_add_u32_sdwa v0, v0, v3 dst_sel:DWORD dst_unused:UNUSED_PAD src0_sel:DWORD src1_sel:BYTE_0
	v_add_lshl_u32 v194, v213, v0, 4
	;; [unrolled: 3-line block ×3, first 2 shown]
	v_mul_u32_u24_e32 v249, 39, v8
	s_waitcnt vmcnt(7) lgkmcnt(0)
	v_mul_f64 v[88:89], v[70:71], v[223:224]
	v_mul_f64 v[90:91], v[68:69], v[223:224]
	s_waitcnt vmcnt(6)
	v_mul_f64 v[84:85], v[82:83], v[238:239]
	v_mul_f64 v[86:87], v[80:81], v[238:239]
	s_waitcnt vmcnt(5)
	v_mul_f64 v[96:97], v[54:55], v[242:243]
	s_waitcnt vmcnt(4)
	v_mul_f64 v[92:93], v[78:79], v[12:13]
	v_mul_f64 v[94:95], v[76:77], v[12:13]
	v_fma_f64 v[68:69], v[68:69], v[221:222], -v[88:89]
	v_mul_f64 v[98:99], v[52:53], v[242:243]
	v_fma_f64 v[80:81], v[80:81], v[236:237], -v[84:85]
	v_fma_f64 v[82:83], v[82:83], v[236:237], v[86:87]
	s_waitcnt vmcnt(3)
	v_mul_f64 v[104:105], v[58:59], v[16:17]
	s_waitcnt vmcnt(2)
	v_mul_f64 v[100:101], v[74:75], v[20:21]
	v_mul_f64 v[102:103], v[72:73], v[20:21]
	;; [unrolled: 1-line block ×3, first 2 shown]
	v_fma_f64 v[76:77], v[76:77], v[10:11], -v[92:93]
	buffer_store_dword v10, off, s[52:55], 0 offset:4 ; 4-byte Folded Spill
	s_nop 0
	buffer_store_dword v11, off, s[52:55], 0 offset:8 ; 4-byte Folded Spill
	buffer_store_dword v12, off, s[52:55], 0 offset:12 ; 4-byte Folded Spill
	;; [unrolled: 1-line block ×3, first 2 shown]
	v_fma_f64 v[70:71], v[70:71], v[221:222], v[90:91]
	s_waitcnt vmcnt(5)
	v_mul_f64 v[108:109], v[62:63], v[199:200]
	v_fma_f64 v[88:89], v[56:57], v[14:15], -v[104:105]
	v_fma_f64 v[72:73], v[72:73], v[18:19], -v[100:101]
	buffer_store_dword v18, off, s[52:55], 0 offset:36 ; 4-byte Folded Spill
	s_nop 0
	buffer_store_dword v19, off, s[52:55], 0 offset:40 ; 4-byte Folded Spill
	buffer_store_dword v20, off, s[52:55], 0 offset:44 ; 4-byte Folded Spill
	;; [unrolled: 1-line block ×4, first 2 shown]
	s_nop 0
	buffer_store_dword v15, off, s[52:55], 0 offset:24 ; 4-byte Folded Spill
	buffer_store_dword v16, off, s[52:55], 0 offset:28 ; 4-byte Folded Spill
	buffer_store_dword v17, off, s[52:55], 0 offset:32 ; 4-byte Folded Spill
	v_mul_f64 v[110:111], v[60:61], v[199:200]
	s_waitcnt vmcnt(12)
	v_mul_f64 v[112:113], v[66:67], v[191:192]
	v_mul_f64 v[114:115], v[64:65], v[191:192]
	v_fma_f64 v[84:85], v[52:53], v[240:241], -v[96:97]
	v_fma_f64 v[86:87], v[54:55], v[240:241], v[98:99]
	v_fma_f64 v[54:55], v[60:61], v[197:198], -v[108:109]
	v_add_f64 v[92:93], v[82:83], -v[70:71]
	v_add_f64 v[96:97], v[40:41], v[76:77]
	v_add_f64 v[104:105], v[48:49], v[72:73]
	v_fma_f64 v[52:53], v[64:65], v[189:190], -v[112:113]
	v_fma_f64 v[56:57], v[66:67], v[189:190], v[114:115]
	v_add_f64 v[66:67], v[80:81], v[68:69]
	v_add_f64 v[98:99], v[76:77], v[84:85]
	v_add_f64 v[112:113], v[72:73], -v[88:89]
	v_add_f64 v[64:65], v[44:45], v[80:81]
	v_add_f64 v[80:81], v[80:81], -v[68:69]
	v_add_f64 v[76:77], v[76:77], -v[84:85]
	s_waitcnt vmcnt(0)
	s_barrier
	v_fma_f64 v[116:117], v[66:67], -0.5, v[44:45]
	v_add_f64 v[44:45], v[96:97], v[84:85]
	v_fma_f64 v[84:85], v[98:99], -0.5, v[40:41]
	v_add_f64 v[64:65], v[64:65], v[68:69]
	v_add_f64 v[68:69], v[104:105], v[88:89]
	v_fma_f64 v[78:79], v[78:79], v[10:11], v[94:95]
	v_add_f64 v[94:95], v[46:47], v[82:83]
	v_add_f64 v[82:83], v[82:83], v[70:71]
	v_fma_f64 v[74:75], v[74:75], v[18:19], v[102:103]
	v_fma_f64 v[90:91], v[58:59], v[14:15], v[106:107]
	;; [unrolled: 1-line block ×3, first 2 shown]
	v_add_f64 v[100:101], v[78:79], -v[86:87]
	v_add_f64 v[102:103], v[42:43], v[78:79]
	v_add_f64 v[78:79], v[78:79], v[86:87]
	;; [unrolled: 1-line block ×5, first 2 shown]
	v_add_f64 v[108:109], v[74:75], -v[90:91]
	v_add_f64 v[114:115], v[58:59], v[56:57]
	v_add_f64 v[74:75], v[74:75], v[90:91]
	v_add_f64 v[60:61], v[58:59], -v[56:57]
	v_add_f64 v[62:63], v[54:55], -v[52:53]
	v_fma_f64 v[82:83], v[82:83], -0.5, v[46:47]
	v_fma_f64 v[78:79], v[78:79], -0.5, v[42:43]
	;; [unrolled: 1-line block ×3, first 2 shown]
	v_add_f64 v[66:67], v[94:95], v[70:71]
	v_fma_f64 v[42:43], v[114:115], -0.5, v[38:39]
	v_fma_f64 v[94:95], v[106:107], -0.5, v[48:49]
	;; [unrolled: 1-line block ×3, first 2 shown]
	v_add_f64 v[46:47], v[102:103], v[86:87]
	v_add_f64 v[70:71], v[110:111], v[90:91]
	v_fma_f64 v[50:51], v[80:81], s[16:17], v[82:83]
	v_fma_f64 v[74:75], v[80:81], s[10:11], v[82:83]
	;; [unrolled: 1-line block ×14, first 2 shown]
	ds_write_b128 v193, v[64:67]
	ds_write_b128 v193, v[48:51] offset:208
	ds_write_b128 v193, v[72:75] offset:416
	ds_write_b128 v194, v[44:47]
	ds_write_b128 v194, v[80:83] offset:208
	ds_write_b128 v194, v[84:87] offset:416
	ds_write_b128 v203, v[68:71]
	ds_write_b128 v203, v[88:91] offset:208
	ds_write_b128 v203, v[92:95] offset:416
	s_and_saveexec_b64 s[16:17], s[2:3]
	s_cbranch_execz .LBB0_11
; %bb.10:
	v_mul_f64 v[44:45], v[62:63], s[10:11]
	v_add_f64 v[46:47], v[38:39], v[58:59]
	v_add_f64 v[36:37], v[36:37], v[54:55]
	v_mul_f64 v[48:49], v[60:61], s[10:11]
	v_add_u32_sdwa v0, v249, v244 dst_sel:DWORD dst_unused:UNUSED_PAD src0_sel:DWORD src1_sel:BYTE_0
	v_add_lshl_u32 v0, v213, v0, 4
	v_add_f64 v[38:39], v[42:43], -v[44:45]
	v_add_f64 v[44:45], v[46:47], v[56:57]
	v_add_f64 v[42:43], v[36:37], v[52:53]
	;; [unrolled: 1-line block ×3, first 2 shown]
	ds_write_b128 v0, v[42:45]
	ds_write_b128 v0, v[36:39] offset:208
	ds_write_b128 v0, v[76:79] offset:416
.LBB0_11:
	s_or_b64 exec, exec, s[16:17]
	v_mov_b32_e32 v37, s9
	s_movk_i32 s10, 0xa0
	v_mov_b32_e32 v36, s8
	v_mad_u64_u32 v[80:81], s[8:9], v248, s10, v[36:37]
	s_waitcnt lgkmcnt(0)
	s_barrier
	global_load_dwordx4 v[72:75], v[80:81], off offset:416
	global_load_dwordx4 v[64:67], v[80:81], off offset:432
	;; [unrolled: 1-line block ×10, first 2 shown]
	ds_read_b128 v[82:85], v255
	ds_read_b128 v[86:89], v255 offset:624
	ds_read_b128 v[90:93], v255 offset:1248
	;; [unrolled: 1-line block ×10, first 2 shown]
	s_mov_b32 s28, 0xf8bb580b
	s_mov_b32 s16, 0x43842ef
	;; [unrolled: 1-line block ×26, first 2 shown]
	s_waitcnt vmcnt(9) lgkmcnt(9)
	v_mul_f64 v[80:81], v[88:89], v[74:75]
	v_mul_f64 v[126:127], v[86:87], v[74:75]
	s_waitcnt vmcnt(8) lgkmcnt(8)
	v_mul_f64 v[128:129], v[92:93], v[66:67]
	v_mul_f64 v[130:131], v[90:91], v[66:67]
	;; [unrolled: 3-line block ×7, first 2 shown]
	v_fma_f64 v[80:81], v[86:87], v[72:73], -v[80:81]
	v_fma_f64 v[86:87], v[88:89], v[72:73], v[126:127]
	v_fma_f64 v[88:89], v[90:91], v[64:65], -v[128:129]
	v_fma_f64 v[90:91], v[92:93], v[64:65], v[130:131]
	;; [unrolled: 2-line block ×6, first 2 shown]
	v_fma_f64 v[108:109], v[110:111], v[0:1], -v[149:150]
	buffer_store_dword v0, off, s[52:55], 0 offset:52 ; 4-byte Folded Spill
	s_nop 0
	buffer_store_dword v1, off, s[52:55], 0 offset:56 ; 4-byte Folded Spill
	buffer_store_dword v2, off, s[52:55], 0 offset:60 ; 4-byte Folded Spill
	;; [unrolled: 1-line block ×3, first 2 shown]
	s_waitcnt vmcnt(5) lgkmcnt(1)
	v_mul_f64 v[157:158], v[120:121], v[58:59]
	v_mul_f64 v[159:160], v[118:119], v[58:59]
	s_waitcnt vmcnt(4) lgkmcnt(0)
	v_mul_f64 v[161:162], v[124:125], v[62:63]
	v_mul_f64 v[163:164], v[122:123], v[62:63]
	v_add_f64 v[126:127], v[84:85], v[86:87]
	v_mul_f64 v[155:156], v[114:115], v[213:214]
	v_mul_f64 v[153:154], v[116:117], v[213:214]
	v_fma_f64 v[118:119], v[118:119], v[56:57], -v[157:158]
	v_fma_f64 v[120:121], v[120:121], v[56:57], v[159:160]
	v_fma_f64 v[116:117], v[116:117], v[211:212], v[155:156]
	v_fma_f64 v[114:115], v[114:115], v[211:212], -v[153:154]
	v_add_f64 v[132:133], v[88:89], v[118:119]
	v_add_f64 v[134:135], v[90:91], v[120:121]
	v_add_f64 v[136:137], v[88:89], -v[118:119]
	v_add_f64 v[138:139], v[90:91], -v[120:121]
	v_add_f64 v[90:91], v[126:127], v[90:91]
	v_mul_f64 v[155:156], v[136:137], s[18:19]
	v_mul_f64 v[153:154], v[138:139], s[18:19]
	v_add_f64 v[90:91], v[90:91], v[94:95]
	v_mul_f64 v[157:158], v[138:139], s[24:25]
	v_mul_f64 v[159:160], v[136:137], s[24:25]
	v_add_f64 v[90:91], v[90:91], v[98:99]
	v_fma_f64 v[183:184], v[132:133], s[22:23], -v[157:158]
	v_add_f64 v[90:91], v[90:91], v[102:103]
	v_fma_f64 v[110:111], v[112:113], v[0:1], v[151:152]
	v_fma_f64 v[112:113], v[122:123], v[60:61], -v[161:162]
	v_fma_f64 v[122:123], v[124:125], v[60:61], v[163:164]
	v_add_f64 v[124:125], v[82:83], v[80:81]
	buffer_load_dword v0, off, s[52:55], 0  ; 4-byte Folded Reload
	v_add_f64 v[128:129], v[80:81], v[112:113]
	v_add_f64 v[130:131], v[86:87], v[122:123]
	;; [unrolled: 1-line block ×3, first 2 shown]
	v_add_f64 v[86:87], v[86:87], -v[122:123]
	v_add_f64 v[80:81], v[80:81], -v[112:113]
	v_add_f64 v[88:89], v[88:89], v[92:93]
	v_mul_f64 v[124:125], v[86:87], s[28:29]
	v_mul_f64 v[126:127], v[80:81], s[28:29]
	;; [unrolled: 1-line block ×7, first 2 shown]
	v_add_f64 v[88:89], v[88:89], v[96:97]
	v_mul_f64 v[151:152], v[80:81], s[24:25]
	v_mul_f64 v[86:87], v[86:87], s[30:31]
	;; [unrolled: 1-line block ×3, first 2 shown]
	v_fma_f64 v[161:162], v[128:129], s[20:21], -v[124:125]
	v_fma_f64 v[124:125], v[128:129], s[20:21], v[124:125]
	v_fma_f64 v[165:166], v[128:129], s[8:9], -v[141:142]
	v_fma_f64 v[141:142], v[128:129], s[8:9], v[141:142]
	v_add_f64 v[88:89], v[88:89], v[100:101]
	v_fma_f64 v[169:170], v[128:129], s[10:11], -v[145:146]
	v_fma_f64 v[145:146], v[128:129], s[10:11], v[145:146]
	v_fma_f64 v[175:176], v[128:129], s[22:23], -v[149:150]
	v_fma_f64 v[149:150], v[128:129], s[22:23], v[149:150]
	v_fma_f64 v[179:180], v[128:129], s[26:27], -v[86:87]
	v_fma_f64 v[181:182], v[130:131], s[26:27], v[80:81]
	v_fma_f64 v[86:87], v[128:129], s[26:27], v[86:87]
	v_fma_f64 v[128:129], v[130:131], s[26:27], -v[80:81]
	v_add_f64 v[80:81], v[88:89], v[104:105]
	v_add_f64 v[88:89], v[90:91], v[106:107]
	v_fma_f64 v[163:164], v[130:131], s[20:21], v[126:127]
	v_fma_f64 v[126:127], v[130:131], s[20:21], -v[126:127]
	v_fma_f64 v[167:168], v[130:131], s[8:9], v[143:144]
	v_fma_f64 v[143:144], v[130:131], s[8:9], -v[143:144]
	;; [unrolled: 2-line block ×3, first 2 shown]
	v_add_f64 v[80:81], v[80:81], v[108:109]
	v_add_f64 v[88:89], v[88:89], v[110:111]
	v_fma_f64 v[177:178], v[130:131], s[22:23], v[151:152]
	v_fma_f64 v[151:152], v[130:131], s[22:23], -v[151:152]
	v_fma_f64 v[90:91], v[132:133], s[8:9], -v[153:154]
	v_fma_f64 v[130:131], v[134:135], s[8:9], v[155:156]
	v_add_f64 v[161:162], v[82:83], v[161:162]
	v_add_f64 v[163:164], v[84:85], v[163:164]
	;; [unrolled: 1-line block ×4, first 2 shown]
	v_fma_f64 v[153:154], v[132:133], s[8:9], v[153:154]
	v_add_f64 v[124:125], v[82:83], v[124:125]
	v_add_f64 v[165:166], v[82:83], v[165:166]
	;; [unrolled: 1-line block ×12, first 2 shown]
	v_fma_f64 v[155:156], v[134:135], s[8:9], -v[155:156]
	v_add_f64 v[126:127], v[84:85], v[126:127]
	v_add_f64 v[82:83], v[88:89], v[122:123]
	v_add_f64 v[88:89], v[90:91], v[161:162]
	v_add_f64 v[90:91], v[130:131], v[163:164]
	v_mul_f64 v[130:131], v[136:137], s[38:39]
	v_add_f64 v[167:168], v[84:85], v[167:168]
	v_add_f64 v[143:144], v[84:85], v[143:144]
	;; [unrolled: 1-line block ×10, first 2 shown]
	v_mul_f64 v[128:129], v[138:139], s[38:39]
	v_mul_f64 v[153:154], v[138:139], s[36:37]
	v_fma_f64 v[161:162], v[134:135], s[26:27], v[130:131]
	v_fma_f64 v[130:131], v[134:135], s[26:27], -v[130:131]
	v_mul_f64 v[165:166], v[136:137], s[36:37]
	v_add_f64 v[122:123], v[155:156], v[126:127]
	v_fma_f64 v[126:127], v[134:135], s[22:23], v[159:160]
	v_fma_f64 v[155:156], v[132:133], s[22:23], v[157:158]
	v_fma_f64 v[157:158], v[134:135], s[22:23], -v[159:160]
	v_fma_f64 v[159:160], v[132:133], s[26:27], -v[128:129]
	;; [unrolled: 1-line block ×3, first 2 shown]
	v_add_f64 v[130:131], v[130:131], v[147:148]
	v_fma_f64 v[147:148], v[134:135], s[10:11], v[165:166]
	v_fma_f64 v[153:154], v[132:133], s[10:11], v[153:154]
	v_mul_f64 v[138:139], v[138:139], s[34:35]
	v_fma_f64 v[128:129], v[132:133], s[26:27], v[128:129]
	v_add_f64 v[141:142], v[155:156], v[141:142]
	v_add_f64 v[155:156], v[159:160], v[169:170]
	v_add_f64 v[159:160], v[94:95], -v[116:117]
	v_mul_f64 v[136:137], v[136:137], s[34:35]
	v_add_f64 v[118:119], v[147:148], v[118:119]
	v_add_f64 v[147:148], v[92:93], -v[114:115]
	v_add_f64 v[120:121], v[153:154], v[120:121]
	v_fma_f64 v[153:154], v[132:133], s[20:21], -v[138:139]
	v_add_f64 v[143:144], v[157:158], v[143:144]
	v_add_f64 v[157:158], v[161:162], v[171:172]
	v_add_f64 v[128:129], v[128:129], v[145:146]
	v_add_f64 v[145:146], v[163:164], v[175:176]
	v_fma_f64 v[161:162], v[134:135], s[10:11], -v[165:166]
	v_add_f64 v[92:93], v[92:93], v[114:115]
	v_mul_f64 v[114:115], v[159:160], s[16:17]
	v_fma_f64 v[163:164], v[134:135], s[20:21], v[136:137]
	v_add_f64 v[94:95], v[94:95], v[116:117]
	v_mul_f64 v[116:117], v[147:148], s[16:17]
	v_fma_f64 v[132:133], v[132:133], s[20:21], v[138:139]
	v_add_f64 v[138:139], v[153:154], v[151:152]
	v_mul_f64 v[153:154], v[159:160], s[38:39]
	v_add_f64 v[149:150], v[161:162], v[149:150]
	v_fma_f64 v[134:135], v[134:135], s[20:21], -v[136:137]
	v_fma_f64 v[136:137], v[92:93], s[10:11], -v[114:115]
	v_add_f64 v[151:152], v[163:164], v[177:178]
	v_mul_f64 v[161:162], v[147:148], s[38:39]
	v_fma_f64 v[163:164], v[94:95], s[10:11], v[116:117]
	v_add_f64 v[86:87], v[132:133], v[86:87]
	v_fma_f64 v[114:115], v[92:93], s[10:11], v[114:115]
	v_fma_f64 v[116:117], v[94:95], s[10:11], -v[116:117]
	v_fma_f64 v[132:133], v[92:93], s[26:27], -v[153:154]
	v_add_f64 v[126:127], v[126:127], v[167:168]
	v_add_f64 v[84:85], v[134:135], v[84:85]
	v_fma_f64 v[134:135], v[94:95], s[26:27], v[161:162]
	s_mov_b32 s19, 0x3fed1bb4
	v_add_f64 v[88:89], v[136:137], v[88:89]
	v_add_f64 v[112:113], v[114:115], v[112:113]
	;; [unrolled: 1-line block ×4, first 2 shown]
	v_fma_f64 v[124:125], v[92:93], s[26:27], v[153:154]
	v_mul_f64 v[153:154], v[159:160], s[28:29]
	v_mul_f64 v[136:137], v[159:160], s[18:19]
	v_add_f64 v[122:123], v[134:135], v[126:127]
	v_fma_f64 v[126:127], v[94:95], s[26:27], -v[161:162]
	v_mul_f64 v[161:162], v[147:148], s[28:29]
	v_add_f64 v[90:91], v[163:164], v[90:91]
	v_mul_f64 v[163:164], v[147:148], s[18:19]
	v_add_f64 v[124:125], v[124:125], v[141:142]
	v_fma_f64 v[141:142], v[92:93], s[20:21], -v[153:154]
	v_fma_f64 v[132:133], v[92:93], s[8:9], -v[136:137]
	v_fma_f64 v[136:137], v[92:93], s[8:9], v[136:137]
	v_add_f64 v[126:127], v[126:127], v[143:144]
	v_fma_f64 v[143:144], v[94:95], s[20:21], v[161:162]
	v_mul_f64 v[147:148], v[147:148], s[24:25]
	v_fma_f64 v[134:135], v[94:95], s[8:9], v[163:164]
	v_fma_f64 v[153:154], v[92:93], s[20:21], v[153:154]
	v_add_f64 v[141:142], v[141:142], v[145:146]
	v_add_f64 v[145:146], v[96:97], -v[108:109]
	v_add_f64 v[132:133], v[132:133], v[155:156]
	v_add_f64 v[128:129], v[136:137], v[128:129]
	v_mul_f64 v[136:137], v[159:160], s[24:25]
	v_fma_f64 v[155:156], v[94:95], s[20:21], -v[161:162]
	v_add_f64 v[118:119], v[143:144], v[118:119]
	v_add_f64 v[143:144], v[98:99], -v[110:111]
	v_add_f64 v[98:99], v[98:99], v[110:111]
	v_mul_f64 v[110:111], v[145:146], s[24:25]
	v_add_f64 v[134:135], v[134:135], v[157:158]
	v_add_f64 v[96:97], v[96:97], v[108:109]
	v_fma_f64 v[157:158], v[92:93], s[22:23], -v[136:137]
	v_add_f64 v[149:150], v[155:156], v[149:150]
	v_fma_f64 v[92:93], v[92:93], s[22:23], v[136:137]
	v_mul_f64 v[108:109], v[143:144], s[24:25]
	v_mul_f64 v[136:137], v[143:144], s[36:37]
	v_fma_f64 v[155:156], v[98:99], s[22:23], v[110:111]
	v_fma_f64 v[110:111], v[98:99], s[22:23], -v[110:111]
	v_fma_f64 v[163:164], v[94:95], s[8:9], -v[163:164]
	v_fma_f64 v[159:160], v[94:95], s[22:23], v[147:148]
	v_add_f64 v[120:121], v[153:154], v[120:121]
	v_fma_f64 v[94:95], v[94:95], s[22:23], -v[147:148]
	v_mul_f64 v[147:148], v[145:146], s[36:37]
	v_fma_f64 v[153:154], v[96:97], s[22:23], -v[108:109]
	v_fma_f64 v[108:109], v[96:97], s[22:23], v[108:109]
	v_add_f64 v[86:87], v[92:93], v[86:87]
	v_fma_f64 v[92:93], v[96:97], s[10:11], -v[136:137]
	v_add_f64 v[110:111], v[110:111], v[114:115]
	v_mul_f64 v[114:115], v[145:146], s[28:29]
	v_add_f64 v[130:131], v[163:164], v[130:131]
	v_add_f64 v[84:85], v[94:95], v[84:85]
	v_fma_f64 v[94:95], v[98:99], s[10:11], v[147:148]
	v_add_f64 v[90:91], v[155:156], v[90:91]
	v_add_f64 v[108:109], v[108:109], v[112:113]
	v_mul_f64 v[112:113], v[143:144], s[28:29]
	v_add_f64 v[116:117], v[92:93], v[116:117]
	v_mul_f64 v[92:93], v[143:144], s[30:31]
	v_fma_f64 v[136:137], v[96:97], s[10:11], v[136:137]
	v_fma_f64 v[155:156], v[98:99], s[20:21], v[114:115]
	v_fma_f64 v[114:115], v[98:99], s[20:21], -v[114:115]
	v_add_f64 v[138:139], v[157:158], v[138:139]
	v_add_f64 v[88:89], v[153:154], v[88:89]
	;; [unrolled: 1-line block ×3, first 2 shown]
	v_mul_f64 v[94:95], v[145:146], s[30:31]
	v_fma_f64 v[147:148], v[98:99], s[10:11], -v[147:148]
	v_fma_f64 v[153:154], v[96:97], s[20:21], -v[112:113]
	v_fma_f64 v[112:113], v[96:97], s[20:21], v[112:113]
	v_fma_f64 v[157:158], v[96:97], s[26:27], -v[92:93]
	v_add_f64 v[124:125], v[136:137], v[124:125]
	v_add_f64 v[114:115], v[114:115], v[130:131]
	v_add_f64 v[130:131], v[102:103], -v[106:107]
	v_add_f64 v[136:137], v[100:101], -v[104:105]
	v_add_f64 v[151:152], v[159:160], v[151:152]
	v_fma_f64 v[159:160], v[98:99], s[26:27], v[94:95]
	v_add_f64 v[126:127], v[147:148], v[126:127]
	v_add_f64 v[112:113], v[112:113], v[128:129]
	v_add_f64 v[128:129], v[157:158], v[141:142]
	v_mul_f64 v[141:142], v[143:144], s[18:19]
	v_mul_f64 v[143:144], v[145:146], s[18:19]
	v_fma_f64 v[92:93], v[96:97], s[26:27], v[92:93]
	v_fma_f64 v[94:95], v[98:99], s[26:27], -v[94:95]
	v_add_f64 v[145:146], v[100:101], v[104:105]
	v_add_f64 v[147:148], v[102:103], v[106:107]
	v_mul_f64 v[100:101], v[130:131], s[30:31]
	v_mul_f64 v[102:103], v[136:137], s[30:31]
	v_fma_f64 v[104:105], v[96:97], s[8:9], -v[141:142]
	v_fma_f64 v[106:107], v[98:99], s[8:9], v[143:144]
	v_add_f64 v[120:121], v[92:93], v[120:121]
	v_add_f64 v[149:150], v[94:95], v[149:150]
	v_fma_f64 v[92:93], v[96:97], s[8:9], v[141:142]
	v_fma_f64 v[94:95], v[98:99], s[8:9], -v[143:144]
	v_fma_f64 v[96:97], v[145:146], s[26:27], -v[100:101]
	v_fma_f64 v[98:99], v[147:148], s[26:27], v[102:103]
	v_add_f64 v[138:139], v[104:105], v[138:139]
	v_add_f64 v[141:142], v[106:107], v[151:152]
	v_mul_f64 v[104:105], v[130:131], s[34:35]
	v_mul_f64 v[106:107], v[136:137], s[34:35]
	v_add_f64 v[143:144], v[92:93], v[86:87]
	v_add_f64 v[151:152], v[94:95], v[84:85]
	;; [unrolled: 1-line block ×4, first 2 shown]
	v_fma_f64 v[88:89], v[145:146], s[26:27], v[100:101]
	v_fma_f64 v[90:91], v[147:148], s[26:27], -v[102:103]
	v_mul_f64 v[100:101], v[130:131], s[24:25]
	v_mul_f64 v[102:103], v[136:137], s[24:25]
	v_add_f64 v[132:133], v[153:154], v[132:133]
	v_add_f64 v[134:135], v[155:156], v[134:135]
	v_fma_f64 v[96:97], v[145:146], s[20:21], -v[104:105]
	v_fma_f64 v[98:99], v[147:148], s[20:21], v[106:107]
	v_fma_f64 v[104:105], v[145:146], s[20:21], v[104:105]
	v_fma_f64 v[106:107], v[147:148], s[20:21], -v[106:107]
	v_add_f64 v[92:93], v[88:89], v[108:109]
	v_add_f64 v[94:95], v[90:91], v[110:111]
	v_fma_f64 v[108:109], v[145:146], s[22:23], -v[100:101]
	v_fma_f64 v[110:111], v[147:148], s[22:23], v[102:103]
	v_add_f64 v[88:89], v[96:97], v[116:117]
	v_add_f64 v[90:91], v[98:99], v[122:123]
	;; [unrolled: 1-line block ×4, first 2 shown]
	v_fma_f64 v[104:105], v[145:146], s[22:23], v[100:101]
	v_fma_f64 v[106:107], v[147:148], s[22:23], -v[102:103]
	v_mul_f64 v[116:117], v[130:131], s[18:19]
	v_mul_f64 v[122:123], v[136:137], s[18:19]
	v_add_f64 v[100:101], v[108:109], v[132:133]
	v_add_f64 v[102:103], v[110:111], v[134:135]
	v_mul_f64 v[108:109], v[130:131], s[16:17]
	v_mul_f64 v[110:111], v[136:137], s[16:17]
	v_add_f64 v[118:119], v[159:160], v[118:119]
	v_add_f64 v[104:105], v[104:105], v[112:113]
	;; [unrolled: 1-line block ×3, first 2 shown]
	v_fma_f64 v[112:113], v[145:146], s[8:9], -v[116:117]
	v_fma_f64 v[114:115], v[147:148], s[8:9], v[122:123]
	v_fma_f64 v[116:117], v[145:146], s[8:9], v[116:117]
	v_fma_f64 v[122:123], v[147:148], s[8:9], -v[122:123]
	v_fma_f64 v[124:125], v[145:146], s[10:11], -v[108:109]
	v_fma_f64 v[126:127], v[147:148], s[10:11], v[110:111]
	v_fma_f64 v[130:131], v[145:146], s[10:11], v[108:109]
	v_fma_f64 v[132:133], v[147:148], s[10:11], -v[110:111]
	v_add_f64 v[108:109], v[112:113], v[128:129]
	v_add_f64 v[110:111], v[114:115], v[118:119]
	;; [unrolled: 1-line block ×8, first 2 shown]
	s_waitcnt vmcnt(0)
	v_lshl_add_u32 v171, v248, 4, v0
	ds_write_b128 v171, v[80:83]
	ds_write_b128 v171, v[84:87] offset:624
	ds_write_b128 v171, v[88:91] offset:1248
	;; [unrolled: 1-line block ×10, first 2 shown]
	s_waitcnt lgkmcnt(0)
	s_barrier
	s_and_saveexec_b64 s[8:9], s[0:1]
	s_cbranch_execz .LBB0_13
; %bb.12:
	v_add_co_u32_e32 v124, vcc, s14, v140
	v_mov_b32_e32 v0, s15
	v_addc_co_u32_e32 v125, vcc, 0, v0, vcc
	v_add_co_u32_e32 v138, vcc, 0x1ad0, v124
	v_addc_co_u32_e32 v139, vcc, 0, v125, vcc
	v_add_co_u32_e32 v130, vcc, 0x1000, v124
	v_addc_co_u32_e32 v131, vcc, 0, v125, vcc
	global_load_dwordx4 v[130:133], v[130:131], off offset:2768
	ds_read_b128 v[126:129], v171
	s_movk_i32 s10, 0x2000
	s_waitcnt vmcnt(0) lgkmcnt(0)
	v_mul_f64 v[134:135], v[128:129], v[132:133]
	v_fma_f64 v[134:135], v[126:127], v[130:131], -v[134:135]
	v_mul_f64 v[126:127], v[126:127], v[132:133]
	v_fma_f64 v[136:137], v[128:129], v[130:131], v[126:127]
	global_load_dwordx4 v[130:133], v[138:139], off offset:528
	ds_read_b128 v[126:129], v171 offset:528
	ds_write_b128 v171, v[134:137]
	s_waitcnt vmcnt(0) lgkmcnt(1)
	v_mul_f64 v[134:135], v[128:129], v[132:133]
	v_fma_f64 v[134:135], v[126:127], v[130:131], -v[134:135]
	v_mul_f64 v[126:127], v[126:127], v[132:133]
	v_fma_f64 v[136:137], v[128:129], v[130:131], v[126:127]
	global_load_dwordx4 v[130:133], v[138:139], off offset:1056
	ds_read_b128 v[126:129], v171 offset:1056
	ds_write_b128 v171, v[134:137] offset:528
	s_waitcnt vmcnt(0) lgkmcnt(1)
	v_mul_f64 v[134:135], v[128:129], v[132:133]
	v_fma_f64 v[134:135], v[126:127], v[130:131], -v[134:135]
	v_mul_f64 v[126:127], v[126:127], v[132:133]
	v_fma_f64 v[136:137], v[128:129], v[130:131], v[126:127]
	global_load_dwordx4 v[130:133], v[138:139], off offset:1584
	ds_read_b128 v[126:129], v171 offset:1584
	ds_write_b128 v171, v[134:137] offset:1056
	;; [unrolled: 8-line block ×5, first 2 shown]
	s_waitcnt vmcnt(0) lgkmcnt(1)
	v_mul_f64 v[134:135], v[128:129], v[132:133]
	v_fma_f64 v[134:135], v[126:127], v[130:131], -v[134:135]
	v_mul_f64 v[126:127], v[126:127], v[132:133]
	v_fma_f64 v[136:137], v[128:129], v[130:131], v[126:127]
	global_load_dwordx4 v[130:133], v[138:139], off offset:3696
	ds_read_b128 v[126:129], v171 offset:3696
	v_add_co_u32_e32 v138, vcc, s10, v124
	v_addc_co_u32_e32 v139, vcc, 0, v125, vcc
	s_movk_i32 s10, 0x3000
	ds_write_b128 v171, v[134:137] offset:3168
	s_waitcnt vmcnt(0) lgkmcnt(1)
	v_mul_f64 v[134:135], v[128:129], v[132:133]
	v_fma_f64 v[134:135], v[126:127], v[130:131], -v[134:135]
	v_mul_f64 v[126:127], v[126:127], v[132:133]
	v_fma_f64 v[136:137], v[128:129], v[130:131], v[126:127]
	global_load_dwordx4 v[130:133], v[138:139], off offset:2896
	ds_read_b128 v[126:129], v171 offset:4224
	ds_write_b128 v171, v[134:137] offset:3696
	s_waitcnt vmcnt(0) lgkmcnt(1)
	v_mul_f64 v[134:135], v[128:129], v[132:133]
	v_fma_f64 v[134:135], v[126:127], v[130:131], -v[134:135]
	v_mul_f64 v[126:127], v[126:127], v[132:133]
	v_fma_f64 v[136:137], v[128:129], v[130:131], v[126:127]
	global_load_dwordx4 v[130:133], v[138:139], off offset:3424
	ds_read_b128 v[126:129], v171 offset:4752
	;; [unrolled: 8-line block ×3, first 2 shown]
	ds_write_b128 v171, v[134:137] offset:4752
	s_waitcnt vmcnt(0) lgkmcnt(1)
	v_mul_f64 v[134:135], v[128:129], v[132:133]
	v_fma_f64 v[134:135], v[126:127], v[130:131], -v[134:135]
	v_mul_f64 v[126:127], v[126:127], v[132:133]
	v_fma_f64 v[136:137], v[128:129], v[130:131], v[126:127]
	ds_read_b128 v[126:129], v171 offset:5808
	ds_write_b128 v171, v[134:137] offset:5280
	v_add_co_u32_e32 v134, vcc, s10, v124
	v_addc_co_u32_e32 v135, vcc, 0, v125, vcc
	global_load_dwordx4 v[130:133], v[134:135], off offset:384
	s_waitcnt vmcnt(0) lgkmcnt(1)
	v_mul_f64 v[124:125], v[128:129], v[132:133]
	v_fma_f64 v[124:125], v[126:127], v[130:131], -v[124:125]
	v_mul_f64 v[126:127], v[126:127], v[132:133]
	v_fma_f64 v[126:127], v[128:129], v[130:131], v[126:127]
	global_load_dwordx4 v[128:131], v[134:135], off offset:912
	ds_write_b128 v171, v[124:127] offset:5808
	ds_read_b128 v[124:127], v171 offset:6336
	s_waitcnt vmcnt(0) lgkmcnt(0)
	v_mul_f64 v[132:133], v[126:127], v[130:131]
	v_fma_f64 v[132:133], v[124:125], v[128:129], -v[132:133]
	v_mul_f64 v[124:125], v[124:125], v[130:131]
	v_fma_f64 v[134:135], v[126:127], v[128:129], v[124:125]
	ds_write_b128 v171, v[132:135] offset:6336
.LBB0_13:
	s_or_b64 exec, exec, s[8:9]
	s_waitcnt lgkmcnt(0)
	s_barrier
	s_and_saveexec_b64 s[8:9], s[0:1]
	s_cbranch_execz .LBB0_15
; %bb.14:
	ds_read_b128 v[80:83], v171
	ds_read_b128 v[84:87], v171 offset:528
	ds_read_b128 v[88:91], v171 offset:1056
	;; [unrolled: 1-line block ×12, first 2 shown]
.LBB0_15:
	s_or_b64 exec, exec, s[8:9]
	s_waitcnt lgkmcnt(0)
	v_add_f64 v[0:1], v[86:87], -v[234:235]
	s_mov_b32 s10, 0x42a4c3d2
	s_mov_b32 s11, 0xbfea55e2
	v_add_f64 v[141:142], v[84:85], v[232:233]
	v_add_f64 v[143:144], v[86:87], v[234:235]
	v_add_f64 v[153:154], v[90:91], -v[78:79]
	s_mov_b32 s8, 0x1ea71119
	s_mov_b32 s22, 0x2ef20147
	v_mul_f64 v[2:3], v[0:1], s[10:11]
	s_mov_b32 s9, 0x3fe22d96
	s_mov_b32 s23, 0xbfedeba7
	v_add_f64 v[151:152], v[84:85], -v[232:233]
	v_mul_f64 v[6:7], v[143:144], s[8:9]
	v_add_f64 v[147:148], v[88:89], v[76:77]
	v_add_f64 v[149:150], v[90:91], v[78:79]
	v_mul_f64 v[4:5], v[153:154], s[22:23]
	buffer_store_dword v2, off, s[52:55], 0 offset:72 ; 4-byte Folded Spill
	s_nop 0
	buffer_store_dword v3, off, s[52:55], 0 offset:76 ; 4-byte Folded Spill
	s_mov_b32 s18, 0x66966769
	s_mov_b32 s20, 0xb2365da1
	;; [unrolled: 1-line block ×4, first 2 shown]
	v_fma_f64 v[126:127], v[151:152], s[10:11], v[6:7]
	v_mul_f64 v[12:13], v[0:1], s[18:19]
	v_add_f64 v[161:162], v[88:89], -v[76:77]
	v_mul_f64 v[8:9], v[149:150], s[20:21]
	v_fma_f64 v[136:137], v[147:148], s[20:21], -v[4:5]
	s_mov_b32 s16, 0xebaa3ed8
	s_mov_b32 s28, 0x4bc48dbf
	;; [unrolled: 1-line block ×4, first 2 shown]
	v_add_f64 v[126:127], v[82:83], v[126:127]
	v_mul_f64 v[34:35], v[143:144], s[16:17]
	v_fma_f64 v[128:129], v[141:142], s[16:17], -v[12:13]
	v_mul_f64 v[25:26], v[153:154], s[28:29]
	s_mov_b32 s24, 0x93053d00
	s_mov_b32 s25, 0xbfef11f4
	v_mul_f64 v[30:31], v[0:1], s[22:23]
	v_mul_f64 v[16:17], v[149:150], s[24:25]
	s_mov_b32 s36, 0x24c2f84
	v_fma_f64 v[130:131], v[151:152], s[18:19], v[34:35]
	v_add_f64 v[128:129], v[80:81], v[128:129]
	s_mov_b32 s37, 0x3fe5384d
	v_mul_f64 v[23:24], v[143:144], s[20:21]
	v_mul_f64 v[20:21], v[153:154], s[36:37]
	v_fma_f64 v[132:133], v[141:142], s[20:21], -v[30:31]
	s_mov_b32 s26, 0xd0032e0c
	s_mov_b32 s27, 0xbfe7f3cc
	v_add_f64 v[130:131], v[82:83], v[130:131]
	v_mul_f64 v[251:252], v[149:150], s[26:27]
	v_add_f64 v[165:166], v[102:103], -v[94:95]
	v_fma_f64 v[134:135], v[151:152], s[22:23], v[23:24]
	v_add_f64 v[159:160], v[100:101], v[92:93]
	v_add_f64 v[132:133], v[80:81], v[132:133]
	;; [unrolled: 1-line block ×3, first 2 shown]
	v_add_f64 v[167:168], v[100:101], -v[92:93]
	s_mov_b32 s41, 0x3fedeba7
	s_mov_b32 s40, s22
	v_mul_f64 v[10:11], v[165:166], s[28:29]
	v_add_f64 v[134:135], v[82:83], v[134:135]
	v_mul_f64 v[32:33], v[165:166], s[40:41]
	s_mov_b32 s35, 0x3fddbe06
	v_mul_f64 v[14:15], v[163:164], s[24:25]
	v_mul_f64 v[40:41], v[163:164], s[20:21]
	s_mov_b32 s34, 0x4267c47c
	v_mul_f64 v[42:43], v[165:166], s[34:35]
	s_mov_b32 s30, 0xe00740e9
	s_mov_b32 s31, 0x3fec55a7
	v_mul_f64 v[138:139], v[163:164], s[30:31]
	v_add_f64 v[187:188], v[110:111], -v[98:99]
	v_add_f64 v[175:176], v[108:109], v[96:97]
	v_add_f64 v[181:182], v[110:111], v[98:99]
	v_add_f64 v[185:186], v[108:109], -v[96:97]
	v_add_f64 v[219:220], v[122:123], v[118:119]
	v_add_f64 v[209:210], v[114:115], -v[106:107]
	s_mov_b32 s45, 0x3fefc445
	s_mov_b32 s44, s18
	v_mul_f64 v[18:19], v[187:188], s[36:37]
	v_mul_f64 v[46:47], v[187:188], s[34:35]
	;; [unrolled: 1-line block ×5, first 2 shown]
	buffer_store_dword v155, off, s[52:55], 0 offset:80 ; 4-byte Folded Spill
	s_nop 0
	buffer_store_dword v156, off, s[52:55], 0 offset:84 ; 4-byte Folded Spill
	v_mul_f64 v[245:246], v[181:182], s[16:17]
	v_add_f64 v[195:196], v[112:113], v[104:105]
	v_add_f64 v[201:202], v[114:115], v[106:107]
	v_mul_f64 v[44:45], v[209:210], s[44:45]
	v_add_f64 v[205:206], v[112:113], -v[104:105]
	v_mul_f64 v[183:184], v[209:210], s[10:11]
	v_fma_f64 v[124:125], v[141:142], s[8:9], -v[2:3]
	v_mul_f64 v[2:3], v[181:182], s[30:31]
	s_mov_b32 s46, s28
	v_mul_f64 v[215:216], v[209:210], s[46:47]
	v_mul_f64 v[145:146], v[201:202], s[16:17]
	;; [unrolled: 1-line block ×4, first 2 shown]
	v_add_f64 v[227:228], v[122:123], -v[118:119]
	v_add_f64 v[124:125], v[80:81], v[124:125]
	v_add_f64 v[217:218], v[120:121], v[116:117]
	v_add_f64 v[225:226], v[120:121], -v[116:117]
	s_mov_b32 s43, 0xbfe5384d
	s_mov_b32 s42, s36
	;; [unrolled: 1-line block ×3, first 2 shown]
	v_mul_f64 v[169:170], v[219:220], s[8:9]
	v_mul_f64 v[177:178], v[227:228], s[34:35]
	v_add_f64 v[124:125], v[136:137], v[124:125]
	v_fma_f64 v[136:137], v[161:162], s[22:23], v[8:9]
	v_mul_f64 v[253:254], v[227:228], s[42:43]
	v_mul_f64 v[157:158], v[227:228], s[48:49]
	s_waitcnt vmcnt(0)
	s_barrier
	v_add_f64 v[126:127], v[136:137], v[126:127]
	v_fma_f64 v[136:137], v[147:148], s[24:25], -v[25:26]
	v_add_f64 v[128:129], v[136:137], v[128:129]
	v_fma_f64 v[136:137], v[161:162], s[28:29], v[16:17]
	v_add_f64 v[130:131], v[136:137], v[130:131]
	v_fma_f64 v[136:137], v[147:148], s[26:27], -v[20:21]
	v_add_f64 v[132:133], v[136:137], v[132:133]
	v_fma_f64 v[136:137], v[161:162], s[36:37], v[251:252]
	;; [unrolled: 4-line block ×12, first 2 shown]
	v_mul_f64 v[155:156], v[219:220], s[26:27]
	v_add_f64 v[126:127], v[136:137], v[126:127]
	v_fma_f64 v[136:137], v[217:218], s[26:27], -v[253:254]
	v_add_f64 v[128:129], v[136:137], v[128:129]
	v_fma_f64 v[136:137], v[225:226], s[42:43], v[155:156]
	v_add_f64 v[130:131], v[136:137], v[130:131]
	v_fma_f64 v[136:137], v[217:218], s[8:9], -v[157:158]
	v_add_f64 v[132:133], v[136:137], v[132:133]
	v_fma_f64 v[136:137], v[225:226], s[48:49], v[169:170]
	v_add_f64 v[134:135], v[136:137], v[134:135]
	s_and_saveexec_b64 s[38:39], s[0:1]
	s_cbranch_execz .LBB0_17
; %bb.16:
	v_mul_f64 v[172:173], v[141:142], s[8:9]
	v_mul_f64 v[136:137], v[151:152], s[28:29]
	v_mov_b32_e32 v174, v248
	v_mul_f64 v[247:248], v[205:206], s[46:47]
	v_add_f64 v[84:85], v[80:81], v[84:85]
	v_add_f64 v[86:87], v[82:83], v[86:87]
	buffer_store_dword v172, off, s[52:55], 0 offset:200 ; 4-byte Folded Spill
	s_nop 0
	buffer_store_dword v173, off, s[52:55], 0 offset:204 ; 4-byte Folded Spill
	buffer_store_dword v2, off, s[52:55], 0 offset:248 ; 4-byte Folded Spill
	s_nop 0
	buffer_store_dword v3, off, s[52:55], 0 offset:252 ; 4-byte Folded Spill
	v_mul_f64 v[172:173], v[151:152], s[10:11]
	v_mov_b32_e32 v2, v138
	v_mov_b32_e32 v3, v139
	v_mul_f64 v[138:139], v[0:1], s[28:29]
	v_add_f64 v[84:85], v[84:85], v[88:89]
	v_add_f64 v[86:87], v[86:87], v[90:91]
	v_mul_f64 v[90:91], v[185:186], s[22:23]
	buffer_store_dword v172, off, s[52:55], 0 offset:224 ; 4-byte Folded Spill
	s_nop 0
	buffer_store_dword v173, off, s[52:55], 0 offset:228 ; 4-byte Folded Spill
	v_mul_f64 v[172:173], v[141:142], s[16:17]
	buffer_store_dword v172, off, s[52:55], 0 offset:272 ; 4-byte Folded Spill
	s_nop 0
	buffer_store_dword v173, off, s[52:55], 0 offset:276 ; 4-byte Folded Spill
	v_mul_f64 v[172:173], v[151:152], s[18:19]
	v_add_f64 v[84:85], v[84:85], v[100:101]
	v_add_f64 v[86:87], v[86:87], v[102:103]
	v_fma_f64 v[102:103], v[181:182], s[20:21], v[90:91]
	v_fma_f64 v[90:91], v[181:182], s[20:21], -v[90:91]
	buffer_store_dword v172, off, s[52:55], 0 offset:328 ; 4-byte Folded Spill
	s_nop 0
	buffer_store_dword v173, off, s[52:55], 0 offset:332 ; 4-byte Folded Spill
	v_mul_f64 v[172:173], v[141:142], s[20:21]
	v_add_f64 v[108:109], v[84:85], v[108:109]
	v_add_f64 v[86:87], v[86:87], v[110:111]
	buffer_store_dword v172, off, s[52:55], 0 offset:304 ; 4-byte Folded Spill
	s_nop 0
	buffer_store_dword v173, off, s[52:55], 0 offset:308 ; 4-byte Folded Spill
	buffer_store_dword v177, off, s[52:55], 0 offset:136 ; 4-byte Folded Spill
	s_nop 0
	buffer_store_dword v178, off, s[52:55], 0 offset:140 ; 4-byte Folded Spill
	;; [unrolled: 3-line block ×4, first 2 shown]
	buffer_store_dword v191, off, s[52:55], 0 offset:100 ; 4-byte Folded Spill
	buffer_store_dword v192, off, s[52:55], 0 offset:104 ; 4-byte Folded Spill
	v_mul_f64 v[172:173], v[147:148], s[20:21]
	v_mul_f64 v[189:190], v[153:154], s[34:35]
	v_fma_f64 v[191:192], v[141:142], s[24:25], -v[138:139]
	v_mul_f64 v[177:178], v[161:162], s[34:35]
	v_fma_f64 v[179:180], v[143:144], s[24:25], v[136:137]
	buffer_store_dword v197, off, s[52:55], 0 offset:108 ; 4-byte Folded Spill
	s_nop 0
	buffer_store_dword v198, off, s[52:55], 0 offset:112 ; 4-byte Folded Spill
	buffer_store_dword v199, off, s[52:55], 0 offset:116 ; 4-byte Folded Spill
	buffer_store_dword v200, off, s[52:55], 0 offset:120 ; 4-byte Folded Spill
	buffer_store_dword v172, off, s[52:55], 0 offset:208 ; 4-byte Folded Spill
	s_nop 0
	buffer_store_dword v173, off, s[52:55], 0 offset:212 ; 4-byte Folded Spill
	buffer_store_dword v203, off, s[52:55], 0 offset:132 ; 4-byte Folded Spill
	v_mul_f64 v[203:204], v[165:166], s[42:43]
	buffer_store_dword v207, off, s[52:55], 0 offset:256 ; 4-byte Folded Spill
	s_nop 0
	buffer_store_dword v208, off, s[52:55], 0 offset:260 ; 4-byte Folded Spill
	v_fma_f64 v[172:173], v[147:148], s[30:31], -v[189:190]
	v_add_f64 v[191:192], v[80:81], v[191:192]
	v_mul_f64 v[199:200], v[167:168], s[42:43]
	v_fma_f64 v[207:208], v[149:150], s[30:31], v[177:178]
	v_add_f64 v[179:180], v[82:83], v[179:180]
	buffer_store_dword v244, off, s[52:55], 0 offset:88 ; 4-byte Folded Spill
	buffer_store_dword v42, off, s[52:55], 0 offset:296 ; 4-byte Folded Spill
	s_nop 0
	buffer_store_dword v43, off, s[52:55], 0 offset:300 ; 4-byte Folded Spill
	buffer_store_dword v44, off, s[52:55], 0 offset:160 ; 4-byte Folded Spill
	s_nop 0
	;; [unrolled: 3-line block ×6, first 2 shown]
	buffer_store_dword v13, off, s[52:55], 0 offset:316 ; 4-byte Folded Spill
	v_mov_b32_e32 v12, v20
	v_mov_b32_e32 v45, v39
	;; [unrolled: 1-line block ×10, first 2 shown]
	v_mul_f64 v[215:216], v[187:188], s[48:49]
	v_mov_b32_e32 v20, v222
	v_mov_b32_e32 v21, v223
	;; [unrolled: 1-line block ×3, first 2 shown]
	v_fma_f64 v[223:224], v[159:160], s[26:27], -v[203:204]
	v_add_f64 v[172:173], v[172:173], v[191:192]
	v_mov_b32_e32 v39, v212
	v_mov_b32_e32 v40, v213
	;; [unrolled: 1-line block ×3, first 2 shown]
	v_mul_f64 v[211:212], v[185:186], s[48:49]
	v_fma_f64 v[221:222], v[163:164], s[26:27], v[199:200]
	v_add_f64 v[179:180], v[207:208], v[179:180]
	buffer_store_dword v4, off, s[52:55], 0 offset:232 ; 4-byte Folded Spill
	s_nop 0
	buffer_store_dword v5, off, s[52:55], 0 offset:236 ; 4-byte Folded Spill
	buffer_store_dword v6, off, s[52:55], 0 offset:280 ; 4-byte Folded Spill
	s_nop 0
	buffer_store_dword v7, off, s[52:55], 0 offset:284 ; 4-byte Folded Spill
	v_mul_f64 v[207:208], v[209:210], s[22:23]
	v_fma_f64 v[6:7], v[175:176], s[8:9], -v[215:216]
	v_add_f64 v[172:173], v[223:224], v[172:173]
	v_mul_f64 v[213:214], v[205:206], s[22:23]
	v_fma_f64 v[136:137], v[143:144], s[24:25], -v[136:137]
	v_fma_f64 v[4:5], v[181:182], s[8:9], v[211:212]
	v_add_f64 v[179:180], v[221:222], v[179:180]
	buffer_store_dword v8, off, s[52:55], 0 offset:288 ; 4-byte Folded Spill
	s_nop 0
	buffer_store_dword v9, off, s[52:55], 0 offset:292 ; 4-byte Folded Spill
	v_fma_f64 v[8:9], v[195:196], s[20:21], -v[207:208]
	v_mul_f64 v[191:192], v[225:226], s[44:45]
	v_add_f64 v[6:7], v[6:7], v[172:173]
	v_fma_f64 v[177:178], v[149:150], s[30:31], -v[177:178]
	v_add_f64 v[136:137], v[82:83], v[136:137]
	v_mul_f64 v[221:222], v[227:228], s[44:45]
	v_fma_f64 v[223:224], v[201:202], s[20:21], v[213:214]
	v_add_f64 v[4:5], v[4:5], v[179:180]
	v_fma_f64 v[138:139], v[141:142], s[24:25], v[138:139]
	buffer_store_dword v10, off, s[52:55], 0 offset:192 ; 4-byte Folded Spill
	s_nop 0
	buffer_store_dword v11, off, s[52:55], 0 offset:196 ; 4-byte Folded Spill
	v_add_f64 v[6:7], v[8:9], v[6:7]
	v_mul_f64 v[8:9], v[161:162], s[22:23]
	v_add_f64 v[136:137], v[177:178], v[136:137]
	v_fma_f64 v[172:173], v[219:220], s[16:17], v[191:192]
	v_fma_f64 v[177:178], v[217:218], s[16:17], -v[221:222]
	v_add_f64 v[4:5], v[223:224], v[4:5]
	v_fma_f64 v[10:11], v[163:164], s[26:27], -v[199:200]
	v_fma_f64 v[189:190], v[147:148], s[30:31], v[189:190]
	v_add_f64 v[138:139], v[80:81], v[138:139]
	buffer_store_dword v8, off, s[52:55], 0 offset:320 ; 4-byte Folded Spill
	s_nop 0
	buffer_store_dword v9, off, s[52:55], 0 offset:324 ; 4-byte Folded Spill
	v_fma_f64 v[179:180], v[181:182], s[8:9], -v[211:212]
	v_mul_f64 v[199:200], v[151:152], s[42:43]
	v_add_f64 v[6:7], v[177:178], v[6:7]
	v_add_f64 v[8:9], v[172:173], v[4:5]
	;; [unrolled: 1-line block ×3, first 2 shown]
	v_fma_f64 v[203:204], v[159:160], s[26:27], v[203:204]
	v_add_f64 v[189:190], v[189:190], v[138:139]
	buffer_store_dword v6, off, s[52:55], 0 offset:144 ; 4-byte Folded Spill
	s_nop 0
	buffer_store_dword v7, off, s[52:55], 0 offset:148 ; 4-byte Folded Spill
	buffer_store_dword v8, off, s[52:55], 0 offset:152 ; 4-byte Folded Spill
	buffer_store_dword v9, off, s[52:55], 0 offset:156 ; 4-byte Folded Spill
	v_fma_f64 v[211:212], v[201:202], s[20:21], -v[213:214]
	v_add_f64 v[4:5], v[179:180], v[10:11]
	v_mul_f64 v[6:7], v[0:1], s[42:43]
	v_fma_f64 v[10:11], v[219:220], s[16:17], -v[191:192]
	v_fma_f64 v[172:173], v[175:176], s[8:9], v[215:216]
	v_mul_f64 v[191:192], v[161:162], s[44:45]
	v_fma_f64 v[177:178], v[143:144], s[26:27], v[199:200]
	v_add_f64 v[179:180], v[203:204], v[189:190]
	v_mul_f64 v[189:190], v[153:154], s[44:45]
	v_add_f64 v[4:5], v[211:212], v[4:5]
	v_fma_f64 v[203:204], v[141:142], s[26:27], -v[6:7]
	v_fma_f64 v[207:208], v[195:196], s[20:21], v[207:208]
	v_mul_f64 v[211:212], v[167:168], s[10:11]
	v_fma_f64 v[213:214], v[149:150], s[16:17], v[191:192]
	v_add_f64 v[177:178], v[82:83], v[177:178]
	v_add_f64 v[172:173], v[172:173], v[179:180]
	v_mov_b32_e32 v139, v35
	v_mov_b32_e32 v138, v34
	;; [unrolled: 1-line block ×3, first 2 shown]
	v_mul_f64 v[215:216], v[165:166], s[10:11]
	v_fma_f64 v[179:180], v[147:148], s[16:17], -v[189:190]
	v_add_f64 v[203:204], v[80:81], v[203:204]
	v_fma_f64 v[221:222], v[217:218], s[16:17], v[221:222]
	v_mul_f64 v[223:224], v[185:186], s[46:47]
	v_mov_b32_e32 v35, v230
	v_fma_f64 v[229:230], v[163:164], s[8:9], v[211:212]
	v_add_f64 v[177:178], v[213:214], v[177:178]
	v_add_f64 v[172:173], v[207:208], v[172:173]
	v_fma_f64 v[213:214], v[159:160], s[8:9], -v[215:216]
	v_add_f64 v[203:204], v[179:180], v[203:204]
	v_add_f64 v[179:180], v[10:11], v[4:5]
	v_mul_f64 v[4:5], v[205:206], s[34:35]
	v_fma_f64 v[10:11], v[181:182], s[24:25], v[223:224]
	v_fma_f64 v[199:200], v[143:144], s[26:27], -v[199:200]
	v_add_f64 v[229:230], v[229:230], v[177:178]
	v_add_f64 v[177:178], v[221:222], v[172:173]
	buffer_store_dword v177, off, s[52:55], 0 offset:176 ; 4-byte Folded Spill
	s_nop 0
	buffer_store_dword v178, off, s[52:55], 0 offset:180 ; 4-byte Folded Spill
	buffer_store_dword v179, off, s[52:55], 0 offset:184 ; 4-byte Folded Spill
	buffer_store_dword v180, off, s[52:55], 0 offset:188 ; 4-byte Folded Spill
	v_add_f64 v[203:204], v[213:214], v[203:204]
	v_mul_f64 v[213:214], v[225:226], s[22:23]
	buffer_store_dword v193, off, s[52:55], 0 offset:124 ; 4-byte Folded Spill
	buffer_store_dword v194, off, s[52:55], 0 offset:128 ; 4-byte Folded Spill
	v_fma_f64 v[193:194], v[201:202], s[30:31], v[4:5]
	v_add_f64 v[10:11], v[10:11], v[229:230]
	v_fma_f64 v[191:192], v[149:150], s[16:17], -v[191:192]
	v_add_f64 v[199:200], v[82:83], v[199:200]
	v_fma_f64 v[211:212], v[163:164], s[8:9], -v[211:212]
	v_mul_f64 v[197:198], v[151:152], s[22:23]
	v_mov_b32_e32 v178, v28
	v_mov_b32_e32 v177, v27
	;; [unrolled: 1-line block ×3, first 2 shown]
	v_add_f64 v[10:11], v[193:194], v[10:11]
	v_fma_f64 v[193:194], v[219:220], s[20:21], v[213:214]
	v_add_f64 v[199:200], v[191:192], v[199:200]
	v_mov_b32_e32 v8, v16
	v_add_f64 v[197:198], v[23:24], -v[197:198]
	v_mov_b32_e32 v136, v14
	v_mov_b32_e32 v9, v17
	;; [unrolled: 1-line block ×4, first 2 shown]
	v_add_f64 v[191:192], v[193:194], v[10:11]
	v_fma_f64 v[193:194], v[181:182], s[24:25], -v[223:224]
	v_add_f64 v[199:200], v[211:212], v[199:200]
	v_mul_f64 v[10:11], v[161:162], s[36:37]
	v_mov_b32_e32 v17, v234
	v_mov_b32_e32 v18, v235
	v_mul_f64 v[231:232], v[161:162], s[28:29]
	v_mul_f64 v[233:234], v[147:148], s[26:27]
	v_mov_b32_e32 v180, v1
	v_mov_b32_e32 v179, v0
	v_add_f64 v[193:194], v[193:194], v[199:200]
	v_mul_f64 v[199:200], v[167:168], s[34:35]
	v_add_f64 v[10:11], v[251:252], -v[10:11]
	v_mov_b32_e32 v252, v26
	v_mov_b32_e32 v251, v25
	;; [unrolled: 1-line block ×6, first 2 shown]
	v_add_f64 v[199:200], v[2:3], -v[199:200]
	buffer_load_dword v2, off, s[52:55], 0 offset:328 ; 4-byte Folded Reload
	buffer_load_dword v3, off, s[52:55], 0 offset:332 ; 4-byte Folded Reload
	v_add_f64 v[231:232], v[8:9], -v[231:232]
	v_add_f64 v[233:234], v[233:234], v[12:13]
	v_fma_f64 v[6:7], v[141:142], s[26:27], v[6:7]
	v_fma_f64 v[189:190], v[147:148], s[16:17], v[189:190]
	v_mul_f64 v[207:208], v[187:188], s[46:47]
	v_fma_f64 v[215:216], v[159:160], s[8:9], v[215:216]
	v_add_f64 v[197:198], v[82:83], v[197:198]
	v_mul_f64 v[223:224], v[159:160], s[30:31]
	v_mul_f64 v[211:212], v[159:160], s[20:21]
	v_mul_f64 v[172:173], v[209:210], s[34:35]
	v_add_f64 v[6:7], v[80:81], v[6:7]
	v_mov_b32_e32 v36, v183
	v_fma_f64 v[221:222], v[175:176], s[24:25], -v[207:208]
	v_fma_f64 v[207:208], v[175:176], s[24:25], v[207:208]
	v_add_f64 v[10:11], v[10:11], v[197:198]
	v_mov_b32_e32 v37, v184
	v_fma_f64 v[4:5], v[201:202], s[30:31], -v[4:5]
	v_fma_f64 v[183:184], v[195:196], s[30:31], -v[172:173]
	v_add_f64 v[6:7], v[189:190], v[6:7]
	v_fma_f64 v[172:173], v[195:196], s[30:31], v[172:173]
	v_add_f64 v[203:204], v[221:222], v[203:204]
	v_mul_f64 v[221:222], v[147:148], s[24:25]
	v_add_f64 v[10:11], v[199:200], v[10:11]
	v_mul_f64 v[229:230], v[227:228], s[22:23]
	v_add_f64 v[4:5], v[4:5], v[193:194]
	v_fma_f64 v[213:214], v[219:220], s[20:21], -v[213:214]
	v_add_f64 v[6:7], v[215:216], v[6:7]
	v_mul_f64 v[215:216], v[167:168], s[40:41]
	v_mul_f64 v[197:198], v[175:176], s[30:31]
	v_add_f64 v[221:222], v[221:222], v[251:252]
	v_add_f64 v[183:184], v[183:184], v[203:204]
	v_fma_f64 v[203:204], v[217:218], s[20:21], -v[229:230]
	v_mul_f64 v[251:252], v[225:226], s[42:43]
	v_mul_f64 v[199:200], v[205:206], s[44:45]
	v_add_f64 v[6:7], v[207:208], v[6:7]
	v_mul_f64 v[207:208], v[185:186], s[18:19]
	v_add_f64 v[215:216], v[145:146], -v[215:216]
	v_mul_f64 v[145:146], v[217:218], s[26:27]
	v_mul_f64 v[235:236], v[185:186], s[36:37]
	v_add_f64 v[189:190], v[203:204], v[183:184]
	v_mul_f64 v[203:204], v[167:168], s[28:29]
	v_mul_f64 v[183:184], v[159:160], s[24:25]
	v_add_f64 v[6:7], v[172:173], v[6:7]
	v_add_f64 v[207:208], v[245:246], -v[207:208]
	v_mul_f64 v[172:173], v[185:186], s[34:35]
	v_mul_f64 v[245:246], v[175:176], s[16:17]
	;; [unrolled: 1-line block ×4, first 2 shown]
	v_add_f64 v[86:87], v[86:87], v[114:115]
	v_add_f64 v[108:109], v[108:109], v[112:113]
	v_mul_f64 v[114:115], v[209:210], s[42:43]
	v_add_f64 v[10:11], v[207:208], v[10:11]
	v_add_f64 v[207:208], v[211:212], v[32:33]
	v_mul_f64 v[112:113], v[227:228], s[28:29]
	;; [unrolled: 3-line block ×3, first 2 shown]
	v_add_f64 v[86:87], v[86:87], v[118:119]
	v_add_f64 v[108:109], v[108:109], v[116:117]
	;; [unrolled: 1-line block ×4, first 2 shown]
	v_fma_f64 v[108:109], v[159:160], s[16:17], -v[122:123]
	s_waitcnt vmcnt(0)
	v_add_f64 v[237:238], v[138:139], -v[2:3]
	v_mul_f64 v[2:3], v[195:196], s[16:17]
	buffer_store_dword v2, off, s[52:55], 0 offset:328 ; 4-byte Folded Spill
	s_nop 0
	buffer_store_dword v3, off, s[52:55], 0 offset:332 ; 4-byte Folded Spill
	buffer_load_dword v0, off, s[52:55], 0 offset:304 ; 4-byte Folded Reload
	buffer_load_dword v1, off, s[52:55], 0 offset:308 ; 4-byte Folded Reload
	;; [unrolled: 1-line block ×6, first 2 shown]
	v_add_f64 v[237:238], v[82:83], v[237:238]
	v_mul_f64 v[2:3], v[195:196], s[8:9]
	v_add_f64 v[86:87], v[86:87], v[98:99]
	v_add_f64 v[96:97], v[104:105], v[96:97]
	;; [unrolled: 1-line block ×4, first 2 shown]
	v_fma_f64 v[4:5], v[217:218], s[20:21], v[229:230]
	v_add_f64 v[213:214], v[34:35], -v[247:248]
	v_add_f64 v[2:3], v[2:3], v[36:37]
	v_mul_f64 v[237:238], v[225:226], s[34:35]
	s_mov_b32 s35, 0xbfddbe06
	v_mul_f64 v[151:152], v[151:152], s[34:35]
	v_add_f64 v[138:139], v[215:216], v[138:139]
	v_mul_f64 v[110:111], v[179:180], s[34:35]
	v_add_f64 v[229:230], v[4:5], v[6:7]
	v_add_f64 v[10:11], v[213:214], v[10:11]
	;; [unrolled: 1-line block ×4, first 2 shown]
	v_fma_f64 v[94:95], v[195:196], s[26:27], -v[114:115]
	v_mov_b32_e32 v248, v174
	v_fma_f64 v[120:121], v[141:142], s[30:31], v[110:111]
	v_fma_f64 v[110:111], v[141:142], s[30:31], -v[110:111]
	v_fma_f64 v[141:142], v[149:150], s[8:9], -v[161:162]
	v_add_f64 v[86:87], v[86:87], v[78:79]
	v_add_f64 v[76:77], v[92:93], v[76:77]
	v_add_f64 v[116:117], v[80:81], v[120:121]
	s_waitcnt vmcnt(4)
	v_add_f64 v[0:1], v[0:1], v[30:31]
	v_mov_b32_e32 v28, v240
	v_mov_b32_e32 v29, v241
	;; [unrolled: 1-line block ×4, first 2 shown]
	s_waitcnt vmcnt(0)
	v_add_f64 v[239:240], v[8:9], v[12:13]
	buffer_load_dword v12, off, s[52:55], 0 offset:296 ; 4-byte Folded Reload
	buffer_load_dword v13, off, s[52:55], 0 offset:300 ; 4-byte Folded Reload
	v_mul_f64 v[243:244], v[195:196], s[24:25]
	v_add_f64 v[0:1], v[80:81], v[0:1]
	v_mul_f64 v[241:242], v[205:206], s[10:11]
	v_mul_f64 v[8:9], v[217:218], s[30:31]
	v_add_f64 v[239:240], v[80:81], v[239:240]
	v_add_f64 v[0:1], v[233:234], v[0:1]
	v_mul_f64 v[233:234], v[217:218], s[8:9]
	v_add_f64 v[211:212], v[221:222], v[239:240]
	s_waitcnt vmcnt(0)
	v_add_f64 v[223:224], v[223:224], v[12:13]
	buffer_load_dword v12, off, s[52:55], 0 offset:248 ; 4-byte Folded Reload
	buffer_load_dword v13, off, s[52:55], 0 offset:252 ; 4-byte Folded Reload
	buffer_load_dword v32, off, s[52:55], 0 offset:240 ; 4-byte Folded Reload
	buffer_load_dword v33, off, s[52:55], 0 offset:244 ; 4-byte Folded Reload
	v_add_f64 v[0:1], v[223:224], v[0:1]
	s_waitcnt vmcnt(2)
	v_add_f64 v[172:173], v[12:13], -v[172:173]
	v_mul_f64 v[12:13], v[225:226], s[48:49]
	s_waitcnt vmcnt(0)
	v_add_f64 v[215:216], v[245:246], v[32:33]
	buffer_load_dword v32, off, s[52:55], 0 offset:256 ; 4-byte Folded Reload
	buffer_load_dword v33, off, s[52:55], 0 offset:260 ; 4-byte Folded Reload
	v_add_f64 v[138:139], v[172:173], v[138:139]
	v_add_f64 v[169:170], v[169:170], -v[12:13]
	buffer_load_dword v12, off, s[52:55], 0 offset:264 ; 4-byte Folded Reload
	buffer_load_dword v13, off, s[52:55], 0 offset:268 ; 4-byte Folded Reload
	v_add_f64 v[172:173], v[197:198], v[46:47]
	v_add_f64 v[197:198], v[207:208], v[211:212]
	;; [unrolled: 1-line block ×3, first 2 shown]
	v_add_f64 v[211:212], v[155:156], -v[251:252]
	v_add_f64 v[155:156], v[169:170], v[10:11]
	v_add_f64 v[10:11], v[233:234], v[157:158]
	s_waitcnt vmcnt(2)
	v_add_f64 v[221:222], v[32:33], -v[241:242]
	s_waitcnt vmcnt(0)
	v_add_f64 v[207:208], v[243:244], v[12:13]
	buffer_load_dword v12, off, s[52:55], 0 ; 4-byte Folded Reload
	buffer_load_dword v4, off, s[52:55], 0 offset:224 ; 4-byte Folded Reload
	buffer_load_dword v5, off, s[52:55], 0 offset:228 ; 4-byte Folded Reload
	;; [unrolled: 1-line block ×4, first 2 shown]
	v_add_f64 v[138:139], v[221:222], v[138:139]
	v_mov_b32_e32 v224, v22
	v_mov_b32_e32 v223, v21
	;; [unrolled: 1-line block ×4, first 2 shown]
	v_add_f64 v[157:158], v[207:208], v[0:1]
	buffer_load_dword v0, off, s[52:55], 0 offset:288 ; 4-byte Folded Reload
	buffer_load_dword v1, off, s[52:55], 0 offset:292 ; 4-byte Folded Reload
	;; [unrolled: 1-line block ×4, first 2 shown]
	v_mov_b32_e32 v243, v31
	v_add_f64 v[169:170], v[211:212], v[138:139]
	v_add_f64 v[138:139], v[145:146], v[253:254]
	v_mov_b32_e32 v214, v41
	v_mov_b32_e32 v213, v40
	;; [unrolled: 1-line block ×11, first 2 shown]
	s_waitcnt vmcnt(4)
	v_add_f64 v[4:5], v[6:7], -v[4:5]
	v_add_f64 v[6:7], v[172:173], v[197:198]
	v_add_f64 v[197:198], v[136:137], -v[203:204]
	v_fma_f64 v[203:204], v[143:144], s[30:31], v[151:152]
	v_fma_f64 v[143:144], v[143:144], s[30:31], -v[151:152]
	s_waitcnt vmcnt(0)
	v_add_f64 v[0:1], v[0:1], -v[13:14]
	v_add_f64 v[4:5], v[82:83], v[4:5]
	v_add_f64 v[6:7], v[2:3], v[6:7]
	buffer_load_dword v2, off, s[52:55], 0 offset:72 ; 4-byte Folded Reload
	buffer_load_dword v3, off, s[52:55], 0 offset:76 ; 4-byte Folded Reload
	;; [unrolled: 1-line block ×4, first 2 shown]
	v_add_f64 v[0:1], v[0:1], v[4:5]
	v_add_f64 v[0:1], v[197:198], v[0:1]
	;; [unrolled: 1-line block ×5, first 2 shown]
	s_waitcnt vmcnt(0)
	v_add_f64 v[2:3], v[13:14], v[2:3]
	buffer_load_dword v13, off, s[52:55], 0 offset:80 ; 4-byte Folded Reload
	buffer_load_dword v14, off, s[52:55], 0 offset:84 ; 4-byte Folded Reload
	v_add_f64 v[2:3], v[80:81], v[2:3]
	v_add_f64 v[80:81], v[80:81], v[110:111]
	v_fma_f64 v[110:111], v[159:160], s[16:17], v[122:123]
	s_waitcnt vmcnt(0)
	v_add_f64 v[145:146], v[13:14], -v[237:238]
	buffer_load_dword v13, off, s[52:55], 0 offset:216 ; 4-byte Folded Reload
	buffer_load_dword v14, off, s[52:55], 0 offset:220 ; 4-byte Folded Reload
	s_waitcnt vmcnt(0)
	v_add_f64 v[172:173], v[13:14], -v[199:200]
	buffer_load_dword v4, off, s[52:55], 0 offset:208 ; 4-byte Folded Reload
	buffer_load_dword v5, off, s[52:55], 0 offset:212 ; 4-byte Folded Reload
	;; [unrolled: 1-line block ×4, first 2 shown]
	v_add_f64 v[199:200], v[177:178], -v[235:236]
	v_mov_b32_e32 v239, v27
	v_mov_b32_e32 v238, v26
	;; [unrolled: 1-line block ×4, first 2 shown]
	v_add_f64 v[0:1], v[199:200], v[0:1]
	v_add_f64 v[0:1], v[172:173], v[0:1]
	;; [unrolled: 1-line block ×3, first 2 shown]
	v_mul_f64 v[145:146], v[153:154], s[10:11]
	v_add_f64 v[153:154], v[10:11], v[157:158]
	v_fma_f64 v[143:144], v[147:148], s[8:9], v[145:146]
	v_fma_f64 v[118:119], v[147:148], s[8:9], -v[145:146]
	v_add_f64 v[106:107], v[143:144], v[116:117]
	v_add_f64 v[80:81], v[118:119], v[80:81]
	;; [unrolled: 1-line block ×4, first 2 shown]
	s_waitcnt vmcnt(0)
	v_add_f64 v[4:5], v[4:5], v[13:14]
	buffer_load_dword v13, off, s[52:55], 0 offset:192 ; 4-byte Folded Reload
	buffer_load_dword v14, off, s[52:55], 0 offset:196 ; 4-byte Folded Reload
	;; [unrolled: 1-line block ×3, first 2 shown]
	v_add_f64 v[2:3], v[4:5], v[2:3]
	v_mul_f64 v[4:5], v[167:168], s[18:19]
	v_fma_f64 v[167:168], v[149:150], s[8:9], v[161:162]
	v_add_f64 v[167:168], v[167:168], v[197:198]
	s_waitcnt vmcnt(1)
	v_add_f64 v[183:184], v[183:184], v[13:14]
	buffer_load_dword v13, off, s[52:55], 0 offset:168 ; 4-byte Folded Reload
	buffer_load_dword v14, off, s[52:55], 0 offset:172 ; 4-byte Folded Reload
	v_add_f64 v[2:3], v[183:184], v[2:3]
	v_fma_f64 v[183:184], v[163:164], s[16:17], v[4:5]
	v_fma_f64 v[4:5], v[163:164], s[16:17], -v[4:5]
	v_add_f64 v[136:137], v[183:184], v[167:168]
	v_add_f64 v[4:5], v[4:5], v[82:83]
	;; [unrolled: 1-line block ×5, first 2 shown]
	v_mul_f64 v[136:137], v[187:188], s[22:23]
	v_fma_f64 v[90:91], v[195:196], s[26:27], v[114:115]
	v_fma_f64 v[82:83], v[175:176], s[20:21], v[136:137]
	v_fma_f64 v[104:105], v[175:176], s[20:21], -v[136:137]
	v_add_f64 v[82:83], v[82:83], v[98:99]
	v_add_f64 v[80:81], v[104:105], v[80:81]
	v_fma_f64 v[98:99], v[217:218], s[24:25], -v[112:113]
	v_add_f64 v[82:83], v[90:91], v[82:83]
	v_add_f64 v[80:81], v[94:95], v[80:81]
	s_waitcnt vmcnt(0)
	v_add_f64 v[88:89], v[193:194], v[13:14]
	buffer_load_dword v194, off, s[52:55], 0 offset:128 ; 4-byte Folded Reload
	buffer_load_dword v193, off, s[52:55], 0 offset:124 ; 4-byte Folded Reload
	;; [unrolled: 1-line block ×13, first 2 shown]
	v_add_f64 v[2:3], v[88:89], v[2:3]
	v_mul_f64 v[88:89], v[205:206], s[42:43]
	s_waitcnt vmcnt(2)
	v_add_f64 v[100:101], v[19:20], v[13:14]
	s_waitcnt vmcnt(0)
	v_add_f64 v[8:9], v[8:9], v[0:1]
	v_mul_f64 v[0:1], v[225:226], s[28:29]
	v_add_f64 v[100:101], v[100:101], v[2:3]
	v_fma_f64 v[2:3], v[201:202], s[26:27], v[88:89]
	v_fma_f64 v[88:89], v[201:202], s[26:27], -v[88:89]
	v_fma_f64 v[96:97], v[219:220], s[24:25], -v[0:1]
	v_fma_f64 v[90:91], v[219:220], s[24:25], v[0:1]
	v_add_f64 v[0:1], v[76:77], v[15:16]
	v_add_f64 v[92:93], v[2:3], v[102:103]
	;; [unrolled: 1-line block ×3, first 2 shown]
	v_fma_f64 v[88:89], v[217:218], s[24:25], v[112:113]
	v_add_f64 v[2:3], v[86:87], v[17:18]
	v_add_f64 v[86:87], v[98:99], v[80:81]
	;; [unrolled: 1-line block ×3, first 2 shown]
	buffer_load_dword v4, off, s[52:55], 0 offset:68 ; 4-byte Folded Reload
	v_add_f64 v[76:77], v[88:89], v[82:83]
	v_add_f64 v[82:83], v[8:9], v[100:101]
	;; [unrolled: 1-line block ×3, first 2 shown]
	s_waitcnt vmcnt(0)
	v_lshl_add_u32 v4, v4, 4, v12
	ds_write_b128 v4, v[0:3]
	ds_write_b128 v4, v[76:79] offset:16
	ds_write_b128 v4, v[82:85] offset:32
	;; [unrolled: 1-line block ×5, first 2 shown]
	buffer_load_dword v0, off, s[52:55], 0 offset:176 ; 4-byte Folded Reload
	buffer_load_dword v1, off, s[52:55], 0 offset:180 ; 4-byte Folded Reload
	;; [unrolled: 1-line block ×4, first 2 shown]
	s_waitcnt vmcnt(0)
	ds_write_b128 v4, v[0:3] offset:96
	buffer_load_dword v0, off, s[52:55], 0 offset:144 ; 4-byte Folded Reload
	buffer_load_dword v1, off, s[52:55], 0 offset:148 ; 4-byte Folded Reload
	;; [unrolled: 1-line block ×4, first 2 shown]
	s_waitcnt vmcnt(0)
	ds_write_b128 v4, v[0:3] offset:112
	ds_write_b128 v4, v[189:192] offset:128
	buffer_load_dword v189, off, s[52:55], 0 offset:92 ; 4-byte Folded Reload
	buffer_load_dword v190, off, s[52:55], 0 offset:96 ; 4-byte Folded Reload
	;; [unrolled: 1-line block ×4, first 2 shown]
	ds_write_b128 v4, v[132:135] offset:144
	ds_write_b128 v4, v[128:131] offset:160
	;; [unrolled: 1-line block ×4, first 2 shown]
.LBB0_17:
	s_or_b64 exec, exec, s[38:39]
	s_waitcnt vmcnt(0) lgkmcnt(0)
	s_barrier
	ds_read_b128 v[80:83], v255
	ds_read_b128 v[76:79], v255 offset:624
	ds_read_b128 v[100:103], v255 offset:4576
	;; [unrolled: 1-line block ×8, first 2 shown]
	s_and_saveexec_b64 s[8:9], s[2:3]
	s_cbranch_execz .LBB0_19
; %bb.18:
	ds_read_b128 v[132:135], v255 offset:1872
	ds_read_b128 v[128:131], v255 offset:4160
	;; [unrolled: 1-line block ×3, first 2 shown]
.LBB0_19:
	s_or_b64 exec, exec, s[8:9]
	buffer_load_dword v16, off, s[52:55], 0 offset:4 ; 4-byte Folded Reload
	buffer_load_dword v17, off, s[52:55], 0 offset:8 ; 4-byte Folded Reload
	;; [unrolled: 1-line block ×12, first 2 shown]
	s_waitcnt lgkmcnt(4)
	v_mul_f64 v[4:5], v[238:239], v[106:107]
	v_mul_f64 v[6:7], v[223:224], v[102:103]
	;; [unrolled: 1-line block ×6, first 2 shown]
	s_mov_b32 s8, 0xe8584caa
	s_mov_b32 s9, 0xbfebb67a
	v_fma_f64 v[4:5], v[236:237], v[104:105], v[4:5]
	v_fma_f64 v[6:7], v[221:222], v[100:101], v[6:7]
	v_fma_f64 v[8:9], v[236:237], v[106:107], -v[8:9]
	v_fma_f64 v[10:11], v[221:222], v[102:103], -v[10:11]
	v_fma_f64 v[26:27], v[240:241], v[88:89], v[26:27]
	v_fma_f64 v[88:89], v[240:241], v[90:91], -v[22:23]
	s_mov_b32 s11, 0x3febb67a
	s_mov_b32 s10, s8
	s_waitcnt lgkmcnt(0)
	v_add_f64 v[12:13], v[4:5], v[6:7]
	s_waitcnt vmcnt(0)
	s_barrier
	v_add_f64 v[22:23], v[8:9], v[10:11]
	v_add_f64 v[20:21], v[8:9], -v[10:11]
	v_add_f64 v[8:9], v[82:83], v[8:9]
	v_fma_f64 v[22:23], v[22:23], -0.5, v[82:83]
	v_mul_f64 v[14:15], v[18:19], v[98:99]
	v_mul_f64 v[18:19], v[18:19], v[96:97]
	;; [unrolled: 1-line block ×6, first 2 shown]
	v_fma_f64 v[96:97], v[16:17], v[96:97], v[14:15]
	v_add_f64 v[14:15], v[80:81], v[4:5]
	v_fma_f64 v[98:99], v[16:17], v[98:99], -v[18:19]
	v_fma_f64 v[18:19], v[12:13], -0.5, v[80:81]
	v_fma_f64 v[90:91], v[32:33], v[92:93], v[100:101]
	v_fma_f64 v[34:35], v[32:33], v[94:95], -v[34:35]
	v_fma_f64 v[80:81], v[28:29], v[84:85], v[104:105]
	v_fma_f64 v[84:85], v[28:29], v[86:87], -v[30:31]
	v_add_f64 v[4:5], v[4:5], -v[6:7]
	v_add_f64 v[12:13], v[14:15], v[6:7]
	v_add_f64 v[14:15], v[96:97], v[26:27]
	;; [unrolled: 1-line block ×3, first 2 shown]
	v_fma_f64 v[16:17], v[20:21], s[8:9], v[18:19]
	v_fma_f64 v[20:21], v[20:21], s[10:11], v[18:19]
	v_add_f64 v[32:33], v[98:99], -v[88:89]
	v_add_f64 v[86:87], v[2:3], v[34:35]
	v_fma_f64 v[18:19], v[4:5], s[10:11], v[22:23]
	v_fma_f64 v[22:23], v[4:5], s[8:9], v[22:23]
	v_fma_f64 v[30:31], v[14:15], -0.5, v[76:77]
	v_add_f64 v[14:15], v[8:9], v[10:11]
	v_add_f64 v[8:9], v[98:99], v[88:89]
	;; [unrolled: 1-line block ×6, first 2 shown]
	v_add_f64 v[76:77], v[96:97], -v[26:27]
	v_add_f64 v[82:83], v[34:35], -v[84:85]
	v_fma_f64 v[28:29], v[32:33], s[8:9], v[30:31]
	v_fma_f64 v[8:9], v[8:9], -0.5, v[78:79]
	v_add_f64 v[78:79], v[0:1], v[90:91]
	v_fma_f64 v[4:5], v[4:5], -0.5, v[0:1]
	v_fma_f64 v[6:7], v[6:7], -0.5, v[2:3]
	v_add_f64 v[90:91], v[90:91], -v[80:81]
	v_add_f64 v[26:27], v[10:11], v[88:89]
	v_fma_f64 v[32:33], v[32:33], s[10:11], v[30:31]
	v_add_f64 v[2:3], v[86:87], v[84:85]
	v_fma_f64 v[30:31], v[76:77], s[10:11], v[8:9]
	v_fma_f64 v[34:35], v[76:77], s[8:9], v[8:9]
	v_add_f64 v[0:1], v[78:79], v[80:81]
	v_fma_f64 v[76:77], v[82:83], s[8:9], v[4:5]
	v_fma_f64 v[78:79], v[90:91], s[10:11], v[6:7]
	;; [unrolled: 1-line block ×4, first 2 shown]
	ds_write_b128 v193, v[12:15]
	ds_write_b128 v193, v[16:19] offset:208
	ds_write_b128 v193, v[20:23] offset:416
	ds_write_b128 v194, v[24:27]
	ds_write_b128 v194, v[28:31] offset:208
	ds_write_b128 v194, v[32:35] offset:416
	;; [unrolled: 3-line block ×3, first 2 shown]
	s_and_saveexec_b64 s[16:17], s[2:3]
	s_cbranch_execz .LBB0_21
; %bb.20:
	v_mul_f64 v[0:1], v[199:200], v[128:129]
	v_mul_f64 v[2:3], v[191:192], v[124:125]
	v_mul_f64 v[4:5], v[199:200], v[130:131]
	v_mul_f64 v[6:7], v[191:192], v[126:127]
	v_fma_f64 v[0:1], v[197:198], v[130:131], -v[0:1]
	v_fma_f64 v[2:3], v[189:190], v[126:127], -v[2:3]
	v_fma_f64 v[4:5], v[197:198], v[128:129], v[4:5]
	v_fma_f64 v[6:7], v[189:190], v[124:125], v[6:7]
	v_add_f64 v[14:15], v[134:135], v[0:1]
	v_add_f64 v[8:9], v[0:1], v[2:3]
	v_add_f64 v[16:17], v[0:1], -v[2:3]
	v_add_f64 v[10:11], v[4:5], v[6:7]
	v_add_f64 v[12:13], v[4:5], -v[6:7]
	v_add_f64 v[4:5], v[132:133], v[4:5]
	v_add_f64 v[2:3], v[14:15], v[2:3]
	v_fma_f64 v[8:9], v[8:9], -0.5, v[134:135]
	v_fma_f64 v[18:19], v[10:11], -0.5, v[132:133]
	v_add_f64 v[0:1], v[4:5], v[6:7]
	v_fma_f64 v[6:7], v[12:13], s[8:9], v[8:9]
	v_fma_f64 v[10:11], v[12:13], s[10:11], v[8:9]
	buffer_load_dword v13, off, s[52:55], 0 ; 4-byte Folded Reload
	v_fma_f64 v[8:9], v[16:17], s[8:9], v[18:19]
	v_fma_f64 v[4:5], v[16:17], s[10:11], v[18:19]
	v_add_u32_sdwa v12, v249, v244 dst_sel:DWORD dst_unused:UNUSED_PAD src0_sel:DWORD src1_sel:BYTE_0
	s_waitcnt vmcnt(0)
	v_lshl_add_u32 v12, v12, 4, v13
	ds_write_b128 v12, v[0:3]
	ds_write_b128 v12, v[8:11] offset:208
	ds_write_b128 v12, v[4:7] offset:416
.LBB0_21:
	s_or_b64 exec, exec, s[16:17]
	s_waitcnt lgkmcnt(0)
	s_barrier
	ds_read_b128 v[0:3], v255 offset:624
	ds_read_b128 v[8:11], v255 offset:1872
	;; [unrolled: 1-line block ×3, first 2 shown]
	s_mov_b32 s16, 0xf8bb580b
	s_mov_b32 s17, 0xbfe14ced
	s_waitcnt lgkmcnt(2)
	v_mul_f64 v[12:13], v[74:75], v[2:3]
	v_mul_f64 v[14:15], v[74:75], v[0:1]
	s_waitcnt lgkmcnt(1)
	v_mul_f64 v[20:21], v[50:51], v[10:11]
	v_mul_f64 v[22:23], v[50:51], v[8:9]
	s_mov_b32 s10, 0x8764f0ba
	s_mov_b32 s2, 0x8eee2c13
	;; [unrolled: 1-line block ×4, first 2 shown]
	v_fma_f64 v[28:29], v[72:73], v[0:1], v[12:13]
	v_fma_f64 v[30:31], v[72:73], v[2:3], -v[14:15]
	ds_read_b128 v[12:15], v255
	s_waitcnt lgkmcnt(1)
	v_mul_f64 v[16:17], v[66:67], v[6:7]
	v_mul_f64 v[18:19], v[66:67], v[4:5]
	ds_read_b128 v[0:3], v255 offset:2496
	v_fma_f64 v[42:43], v[48:49], v[8:9], v[20:21]
	v_fma_f64 v[48:49], v[48:49], v[10:11], -v[22:23]
	s_mov_b32 s24, 0x640f44db
	s_mov_b32 s28, 0xbb3a28a1
	;; [unrolled: 1-line block ×3, first 2 shown]
	v_fma_f64 v[32:33], v[64:65], v[4:5], v[16:17]
	v_fma_f64 v[34:35], v[64:65], v[6:7], -v[18:19]
	ds_read_b128 v[4:7], v255 offset:3120
	s_waitcnt lgkmcnt(2)
	v_add_f64 v[16:17], v[12:13], v[28:29]
	v_add_f64 v[18:19], v[14:15], v[30:31]
	s_waitcnt lgkmcnt(1)
	v_mul_f64 v[24:25], v[38:39], v[2:3]
	v_mul_f64 v[26:27], v[38:39], v[0:1]
	s_waitcnt lgkmcnt(0)
	v_mul_f64 v[50:51], v[70:71], v[6:7]
	v_mul_f64 v[64:65], v[70:71], v[4:5]
	s_mov_b32 s36, 0xfd768dbf
	s_mov_b32 s38, 0x9bcd5057
	v_add_f64 v[20:21], v[16:17], v[32:33]
	v_add_f64 v[22:23], v[18:19], v[34:35]
	ds_read_b128 v[8:11], v255 offset:3744
	ds_read_b128 v[16:19], v255 offset:4368
	v_fma_f64 v[66:67], v[36:37], v[0:1], v[24:25]
	v_fma_f64 v[40:41], v[36:37], v[2:3], -v[26:27]
	v_fma_f64 v[4:5], v[68:69], v[4:5], v[50:51]
	s_waitcnt lgkmcnt(1)
	v_mul_f64 v[74:75], v[54:55], v[10:11]
	v_mul_f64 v[54:55], v[54:55], v[8:9]
	v_add_f64 v[70:71], v[20:21], v[42:43]
	v_add_f64 v[72:73], v[22:23], v[48:49]
	ds_read_b128 v[0:3], v255 offset:4992
	ds_read_b128 v[20:23], v255 offset:5616
	;; [unrolled: 1-line block ×3, first 2 shown]
	buffer_load_dword v36, off, s[52:55], 0 offset:52 ; 4-byte Folded Reload
	buffer_load_dword v37, off, s[52:55], 0 offset:56 ; 4-byte Folded Reload
	;; [unrolled: 1-line block ×4, first 2 shown]
	v_fma_f64 v[6:7], v[68:69], v[6:7], -v[64:65]
	s_mov_b32 s11, 0x3feaeb8c
	v_fma_f64 v[8:9], v[52:53], v[8:9], v[74:75]
	v_fma_f64 v[10:11], v[52:53], v[10:11], -v[54:55]
	v_add_f64 v[50:51], v[70:71], v[66:67]
	v_add_f64 v[64:65], v[72:73], v[40:41]
	s_waitcnt lgkmcnt(0)
	v_mul_f64 v[54:55], v[62:63], v[24:25]
	s_mov_b32 s3, 0xbfed1bb4
	s_mov_b32 s9, 0x3fda9628
	;; [unrolled: 1-line block ×5, first 2 shown]
	v_add_f64 v[50:51], v[50:51], v[4:5]
	v_add_f64 v[52:53], v[64:65], v[6:7]
	v_mul_f64 v[64:65], v[213:214], v[2:3]
	s_mov_b32 s31, 0xbfe4f49e
	s_mov_b32 s37, 0xbfd207e7
	;; [unrolled: 1-line block ×5, first 2 shown]
	v_add_f64 v[44:45], v[50:51], v[8:9]
	v_mul_f64 v[50:51], v[62:63], v[26:27]
	v_fma_f64 v[26:27], v[60:61], v[26:27], -v[54:55]
	v_mul_f64 v[54:55], v[58:59], v[20:21]
	s_mov_b32 s19, 0x3fed1bb4
	s_mov_b32 s18, s2
	;; [unrolled: 1-line block ×5, first 2 shown]
	v_fma_f64 v[24:25], v[60:61], v[24:25], v[50:51]
	s_mov_b32 s34, s28
	s_mov_b32 s41, 0x3fd207e7
	;; [unrolled: 1-line block ×3, first 2 shown]
	s_waitcnt vmcnt(0)
	v_mul_f64 v[68:69], v[38:39], v[18:19]
	v_mul_f64 v[46:47], v[38:39], v[16:17]
	v_mul_f64 v[38:39], v[213:214], v[0:1]
	v_fma_f64 v[16:17], v[36:37], v[16:17], v[68:69]
	v_fma_f64 v[18:19], v[36:37], v[18:19], -v[46:47]
	v_add_f64 v[46:47], v[52:53], v[10:11]
	v_mul_f64 v[52:53], v[58:59], v[22:23]
	v_fma_f64 v[58:59], v[211:212], v[0:1], v[64:65]
	v_fma_f64 v[36:37], v[211:212], v[2:3], -v[38:39]
	v_add_f64 v[38:39], v[30:31], -v[26:27]
	v_fma_f64 v[22:23], v[56:57], v[22:23], -v[54:55]
	v_add_f64 v[0:1], v[44:45], v[16:17]
	v_add_f64 v[30:31], v[30:31], v[26:27]
	;; [unrolled: 1-line block ×3, first 2 shown]
	v_fma_f64 v[20:21], v[56:57], v[20:21], v[52:53]
	v_add_f64 v[44:45], v[28:29], v[24:25]
	v_add_f64 v[28:29], v[28:29], -v[24:25]
	v_mul_f64 v[46:47], v[38:39], s[16:17]
	v_mul_f64 v[54:55], v[38:39], s[2:3]
	v_add_f64 v[0:1], v[0:1], v[58:59]
	v_mul_f64 v[50:51], v[30:31], s[10:11]
	v_add_f64 v[2:3], v[2:3], v[36:37]
	v_mul_f64 v[56:57], v[30:31], s[8:9]
	v_mul_f64 v[62:63], v[38:39], s[20:21]
	;; [unrolled: 1-line block ×3, first 2 shown]
	v_fma_f64 v[52:53], v[44:45], s[10:11], v[46:47]
	v_mul_f64 v[70:71], v[38:39], s[28:29]
	v_add_f64 v[0:1], v[0:1], v[20:21]
	v_mul_f64 v[72:73], v[30:31], s[30:31]
	v_add_f64 v[2:3], v[2:3], v[22:23]
	v_mul_f64 v[38:39], v[38:39], s[36:37]
	v_mul_f64 v[30:31], v[30:31], s[38:39]
	v_add_f64 v[80:81], v[34:35], -v[22:23]
	v_add_f64 v[22:23], v[34:35], v[22:23]
	v_fma_f64 v[60:61], v[28:29], s[22:23], v[50:51]
	v_add_f64 v[0:1], v[0:1], v[24:25]
	v_fma_f64 v[24:25], v[44:45], s[10:11], -v[46:47]
	v_add_f64 v[2:3], v[2:3], v[26:27]
	v_add_f64 v[26:27], v[12:13], v[52:53]
	v_fma_f64 v[46:47], v[28:29], s[16:17], v[50:51]
	v_fma_f64 v[52:53], v[28:29], s[18:19], v[56:57]
	;; [unrolled: 1-line block ×9, first 2 shown]
	v_add_f64 v[84:85], v[32:33], v[20:21]
	v_add_f64 v[20:21], v[32:33], -v[20:21]
	v_mul_f64 v[32:33], v[80:81], s[2:3]
	v_mul_f64 v[86:87], v[22:23], s[8:9]
	v_fma_f64 v[28:29], v[28:29], s[36:37], v[30:31]
	v_fma_f64 v[50:51], v[44:45], s[8:9], v[54:55]
	v_add_f64 v[60:61], v[14:15], v[60:61]
	v_add_f64 v[24:25], v[12:13], v[24:25]
	;; [unrolled: 1-line block ×4, first 2 shown]
	v_fma_f64 v[54:55], v[44:45], s[8:9], -v[54:55]
	v_fma_f64 v[64:65], v[44:45], s[24:25], v[62:63]
	v_fma_f64 v[62:63], v[44:45], s[24:25], -v[62:63]
	v_fma_f64 v[76:77], v[44:45], s[30:31], v[70:71]
	v_add_f64 v[56:57], v[14:15], v[56:57]
	v_add_f64 v[74:75], v[14:15], v[74:75]
	;; [unrolled: 1-line block ×4, first 2 shown]
	v_fma_f64 v[70:71], v[44:45], s[30:31], -v[70:71]
	v_add_f64 v[72:73], v[14:15], v[72:73]
	v_fma_f64 v[38:39], v[44:45], s[38:39], -v[38:39]
	v_add_f64 v[30:31], v[12:13], v[34:35]
	v_add_f64 v[34:35], v[14:15], v[82:83]
	v_mul_f64 v[44:45], v[80:81], s[28:29]
	v_mul_f64 v[82:83], v[22:23], s[30:31]
	v_fma_f64 v[88:89], v[84:85], s[8:9], v[32:33]
	v_fma_f64 v[90:91], v[20:21], s[18:19], v[86:87]
	v_add_f64 v[14:15], v[14:15], v[28:29]
	v_fma_f64 v[28:29], v[84:85], s[8:9], -v[32:33]
	v_fma_f64 v[32:33], v[20:21], s[2:3], v[86:87]
	v_add_f64 v[50:51], v[12:13], v[50:51]
	v_add_f64 v[54:55], v[12:13], v[54:55]
	;; [unrolled: 1-line block ×7, first 2 shown]
	v_fma_f64 v[38:39], v[84:85], s[30:31], v[44:45]
	v_fma_f64 v[86:87], v[20:21], s[34:35], v[82:83]
	v_add_f64 v[26:27], v[88:89], v[26:27]
	v_add_f64 v[60:61], v[90:91], v[60:61]
	v_mul_f64 v[88:89], v[80:81], s[40:41]
	v_mul_f64 v[90:91], v[22:23], s[38:39]
	v_add_f64 v[24:25], v[28:29], v[24:25]
	v_add_f64 v[28:29], v[32:33], v[46:47]
	v_fma_f64 v[44:45], v[84:85], s[30:31], -v[44:45]
	v_fma_f64 v[46:47], v[20:21], s[28:29], v[82:83]
	v_mul_f64 v[82:83], v[80:81], s[26:27]
	v_add_f64 v[32:33], v[38:39], v[50:51]
	v_add_f64 v[38:39], v[86:87], v[52:53]
	v_fma_f64 v[50:51], v[84:85], s[38:39], v[88:89]
	v_fma_f64 v[52:53], v[20:21], s[36:37], v[90:91]
	v_mul_f64 v[86:87], v[22:23], s[24:25]
	v_fma_f64 v[90:91], v[20:21], s[40:41], v[90:91]
	v_add_f64 v[44:45], v[44:45], v[54:55]
	v_fma_f64 v[54:55], v[84:85], s[24:25], v[82:83]
	v_mul_f64 v[80:81], v[80:81], s[22:23]
	v_mul_f64 v[22:23], v[22:23], s[10:11]
	v_add_f64 v[50:51], v[50:51], v[64:65]
	v_add_f64 v[52:53], v[52:53], v[74:75]
	v_fma_f64 v[74:75], v[20:21], s[26:27], v[86:87]
	v_add_f64 v[64:65], v[90:91], v[68:69]
	v_fma_f64 v[68:69], v[84:85], s[24:25], -v[82:83]
	v_add_f64 v[54:55], v[54:55], v[76:77]
	v_add_f64 v[76:77], v[48:49], -v[36:37]
	v_add_f64 v[46:47], v[46:47], v[56:57]
	v_fma_f64 v[56:57], v[20:21], s[20:21], v[86:87]
	v_add_f64 v[36:37], v[48:49], v[36:37]
	v_fma_f64 v[88:89], v[84:85], s[38:39], -v[88:89]
	v_add_f64 v[48:49], v[68:69], v[70:71]
	v_add_f64 v[68:69], v[74:75], v[72:73]
	v_fma_f64 v[70:71], v[84:85], s[10:11], v[80:81]
	v_fma_f64 v[72:73], v[20:21], s[16:17], v[22:23]
	v_add_f64 v[74:75], v[42:43], v[58:59]
	v_add_f64 v[42:43], v[42:43], -v[58:59]
	v_mul_f64 v[58:59], v[76:77], s[20:21]
	v_add_f64 v[56:57], v[56:57], v[78:79]
	v_mul_f64 v[78:79], v[36:37], s[24:25]
	v_fma_f64 v[20:21], v[20:21], s[22:23], v[22:23]
	v_add_f64 v[22:23], v[70:71], v[30:31]
	v_add_f64 v[30:31], v[72:73], v[34:35]
	v_mul_f64 v[34:35], v[76:77], s[40:41]
	v_fma_f64 v[80:81], v[84:85], s[10:11], -v[80:81]
	v_fma_f64 v[72:73], v[74:75], s[24:25], v[58:59]
	v_mul_f64 v[70:71], v[36:37], s[38:39]
	v_fma_f64 v[82:83], v[42:43], s[26:27], v[78:79]
	v_add_f64 v[14:15], v[20:21], v[14:15]
	v_fma_f64 v[20:21], v[74:75], s[24:25], -v[58:59]
	v_fma_f64 v[58:59], v[42:43], s[20:21], v[78:79]
	v_fma_f64 v[78:79], v[74:75], s[38:39], v[34:35]
	v_add_f64 v[12:13], v[80:81], v[12:13]
	v_add_f64 v[26:27], v[72:73], v[26:27]
	v_mul_f64 v[72:73], v[76:77], s[18:19]
	v_fma_f64 v[80:81], v[42:43], s[36:37], v[70:71]
	v_add_f64 v[60:61], v[82:83], v[60:61]
	v_mul_f64 v[82:83], v[36:37], s[8:9]
	v_add_f64 v[20:21], v[20:21], v[24:25]
	v_add_f64 v[24:25], v[58:59], v[28:29]
	;; [unrolled: 1-line block ×3, first 2 shown]
	v_fma_f64 v[34:35], v[74:75], s[38:39], -v[34:35]
	v_fma_f64 v[58:59], v[74:75], s[8:9], v[72:73]
	v_mul_f64 v[78:79], v[76:77], s[16:17]
	v_add_f64 v[62:63], v[88:89], v[62:63]
	v_add_f64 v[32:33], v[80:81], v[38:39]
	v_fma_f64 v[38:39], v[42:43], s[40:41], v[70:71]
	v_fma_f64 v[70:71], v[42:43], s[2:3], v[82:83]
	v_fma_f64 v[72:73], v[74:75], s[8:9], -v[72:73]
	v_fma_f64 v[82:83], v[42:43], s[18:19], v[82:83]
	v_add_f64 v[34:35], v[34:35], v[44:45]
	v_add_f64 v[44:45], v[58:59], v[50:51]
	v_fma_f64 v[50:51], v[74:75], s[10:11], v[78:79]
	v_mul_f64 v[80:81], v[36:37], s[10:11]
	v_add_f64 v[38:39], v[38:39], v[46:47]
	v_add_f64 v[46:47], v[70:71], v[52:53]
	;; [unrolled: 1-line block ×4, first 2 shown]
	v_mul_f64 v[64:65], v[76:77], s[28:29]
	v_fma_f64 v[70:71], v[74:75], s[10:11], -v[78:79]
	v_add_f64 v[50:51], v[50:51], v[54:55]
	v_add_f64 v[54:55], v[40:41], -v[18:19]
	v_fma_f64 v[52:53], v[42:43], s[22:23], v[80:81]
	v_mul_f64 v[36:37], v[36:37], s[30:31]
	v_fma_f64 v[72:73], v[42:43], s[16:17], v[80:81]
	v_add_f64 v[18:19], v[40:41], v[18:19]
	v_fma_f64 v[40:41], v[74:75], s[30:31], v[64:65]
	v_add_f64 v[48:49], v[70:71], v[48:49]
	v_add_f64 v[70:71], v[66:67], v[16:17]
	v_add_f64 v[16:17], v[66:67], -v[16:17]
	v_mul_f64 v[66:67], v[54:55], s[28:29]
	v_add_f64 v[52:53], v[52:53], v[56:57]
	v_fma_f64 v[56:57], v[42:43], s[34:35], v[36:37]
	v_add_f64 v[68:69], v[72:73], v[68:69]
	v_mul_f64 v[72:73], v[18:19], s[30:31]
	v_add_f64 v[22:23], v[40:41], v[22:23]
	v_fma_f64 v[40:41], v[74:75], s[30:31], -v[64:65]
	v_fma_f64 v[36:37], v[42:43], s[28:29], v[36:37]
	v_fma_f64 v[64:65], v[70:71], s[30:31], v[66:67]
	v_fma_f64 v[66:67], v[70:71], s[30:31], -v[66:67]
	v_add_f64 v[30:31], v[56:57], v[30:31]
	v_mul_f64 v[42:43], v[54:55], s[26:27]
	v_mul_f64 v[56:57], v[18:19], s[24:25]
	v_fma_f64 v[74:75], v[16:17], s[34:35], v[72:73]
	v_fma_f64 v[72:73], v[16:17], s[28:29], v[72:73]
	v_add_f64 v[12:13], v[40:41], v[12:13]
	v_add_f64 v[26:27], v[64:65], v[26:27]
	;; [unrolled: 1-line block ×3, first 2 shown]
	v_mul_f64 v[64:65], v[54:55], s[16:17]
	v_mul_f64 v[66:67], v[18:19], s[10:11]
	v_add_f64 v[14:15], v[36:37], v[14:15]
	v_fma_f64 v[36:37], v[70:71], s[24:25], v[42:43]
	v_fma_f64 v[40:41], v[16:17], s[20:21], v[56:57]
	v_add_f64 v[60:61], v[74:75], v[60:61]
	v_add_f64 v[24:25], v[72:73], v[24:25]
	v_fma_f64 v[42:43], v[70:71], s[24:25], -v[42:43]
	v_fma_f64 v[56:57], v[16:17], s[26:27], v[56:57]
	v_fma_f64 v[72:73], v[70:71], s[10:11], v[64:65]
	;; [unrolled: 1-line block ×3, first 2 shown]
	v_fma_f64 v[64:65], v[70:71], s[10:11], -v[64:65]
	v_fma_f64 v[66:67], v[16:17], s[16:17], v[66:67]
	v_add_f64 v[28:29], v[36:37], v[28:29]
	v_add_f64 v[32:33], v[40:41], v[32:33]
	v_mul_f64 v[36:37], v[54:55], s[36:37]
	v_mul_f64 v[40:41], v[18:19], s[38:39]
	v_add_f64 v[34:35], v[42:43], v[34:35]
	v_add_f64 v[38:39], v[56:57], v[38:39]
	;; [unrolled: 1-line block ×6, first 2 shown]
	v_add_f64 v[58:59], v[6:7], -v[10:11]
	v_add_f64 v[62:63], v[6:7], v[10:11]
	v_mul_f64 v[6:7], v[54:55], s[18:19]
	v_mul_f64 v[10:11], v[18:19], s[8:9]
	v_fma_f64 v[76:77], v[70:71], s[38:39], v[36:37]
	v_fma_f64 v[78:79], v[16:17], s[40:41], v[40:41]
	v_fma_f64 v[18:19], v[70:71], s[38:39], -v[36:37]
	v_fma_f64 v[36:37], v[16:17], s[36:37], v[40:41]
	v_add_f64 v[40:41], v[4:5], v[8:9]
	v_add_f64 v[54:55], v[4:5], -v[8:9]
	v_mul_f64 v[8:9], v[58:59], s[36:37]
	v_fma_f64 v[4:5], v[70:71], s[8:9], v[6:7]
	v_fma_f64 v[66:67], v[16:17], s[2:3], v[10:11]
	v_mul_f64 v[64:65], v[62:63], s[38:39]
	v_fma_f64 v[6:7], v[70:71], s[8:9], -v[6:7]
	v_add_f64 v[68:69], v[36:37], v[68:69]
	v_fma_f64 v[10:11], v[16:17], s[18:19], v[10:11]
	v_add_f64 v[48:49], v[18:19], v[48:49]
	v_fma_f64 v[16:17], v[40:41], s[38:39], v[8:9]
	v_add_f64 v[36:37], v[4:5], v[22:23]
	v_add_f64 v[66:67], v[66:67], v[30:31]
	v_mul_f64 v[22:23], v[58:59], s[22:23]
	v_mul_f64 v[30:31], v[62:63], s[10:11]
	v_fma_f64 v[18:19], v[54:55], s[40:41], v[64:65]
	v_add_f64 v[70:71], v[6:7], v[12:13]
	v_add_f64 v[72:73], v[10:11], v[14:15]
	;; [unrolled: 1-line block ×3, first 2 shown]
	v_fma_f64 v[8:9], v[40:41], s[38:39], -v[8:9]
	v_fma_f64 v[10:11], v[54:55], s[36:37], v[64:65]
	v_fma_f64 v[12:13], v[40:41], s[10:11], v[22:23]
	;; [unrolled: 1-line block ×3, first 2 shown]
	v_mul_f64 v[26:27], v[58:59], s[28:29]
	v_fma_f64 v[16:17], v[40:41], s[10:11], -v[22:23]
	v_mul_f64 v[22:23], v[62:63], s[30:31]
	v_add_f64 v[6:7], v[18:19], v[60:61]
	v_fma_f64 v[18:19], v[54:55], s[22:23], v[30:31]
	v_add_f64 v[8:9], v[8:9], v[20:21]
	v_add_f64 v[10:11], v[10:11], v[24:25]
	;; [unrolled: 1-line block ×4, first 2 shown]
	v_fma_f64 v[20:21], v[40:41], s[30:31], v[26:27]
	v_fma_f64 v[24:25], v[54:55], s[34:35], v[22:23]
	v_fma_f64 v[26:27], v[40:41], s[30:31], -v[26:27]
	v_fma_f64 v[28:29], v[54:55], s[28:29], v[22:23]
	v_mul_f64 v[30:31], v[58:59], s[18:19]
	v_mul_f64 v[32:33], v[62:63], s[8:9]
	v_add_f64 v[16:17], v[16:17], v[34:35]
	v_add_f64 v[18:19], v[18:19], v[38:39]
	v_mul_f64 v[34:35], v[58:59], s[20:21]
	v_mul_f64 v[38:39], v[62:63], s[24:25]
	v_add_f64 v[50:51], v[76:77], v[50:51]
	v_add_f64 v[52:53], v[78:79], v[52:53]
	;; [unrolled: 1-line block ×6, first 2 shown]
	v_fma_f64 v[28:29], v[40:41], s[8:9], v[30:31]
	v_fma_f64 v[42:43], v[54:55], s[2:3], v[32:33]
	v_fma_f64 v[46:47], v[40:41], s[24:25], v[34:35]
	v_fma_f64 v[56:57], v[54:55], s[26:27], v[38:39]
	v_fma_f64 v[34:35], v[40:41], s[24:25], -v[34:35]
	v_fma_f64 v[58:59], v[54:55], s[20:21], v[38:39]
	v_fma_f64 v[44:45], v[40:41], s[8:9], -v[30:31]
	v_fma_f64 v[54:55], v[54:55], s[18:19], v[32:33]
	v_add_f64 v[28:29], v[28:29], v[50:51]
	v_add_f64 v[30:31], v[42:43], v[52:53]
	;; [unrolled: 1-line block ×8, first 2 shown]
	ds_write_b128 v171, v[0:3]
	ds_write_b128 v171, v[4:7] offset:624
	ds_write_b128 v171, v[12:15] offset:1248
	;; [unrolled: 1-line block ×10, first 2 shown]
	s_waitcnt lgkmcnt(0)
	s_barrier
	s_and_b64 exec, exec, s[0:1]
	s_cbranch_execz .LBB0_23
; %bb.22:
	global_load_dwordx4 v[0:3], v140, s[14:15]
	global_load_dwordx4 v[4:7], v140, s[14:15] offset:528
	global_load_dwordx4 v[8:11], v140, s[14:15] offset:1056
	;; [unrolled: 1-line block ×4, first 2 shown]
	ds_read_b128 v[20:23], v171
	ds_read_b128 v[24:27], v171 offset:528
	ds_read_b128 v[28:31], v171 offset:1056
	;; [unrolled: 1-line block ×3, first 2 shown]
	global_load_dwordx4 v[36:39], v140, s[14:15] offset:2640
	ds_read_b128 v[40:43], v171 offset:2112
	ds_read_b128 v[44:47], v171 offset:2640
	global_load_dwordx4 v[48:51], v140, s[14:15] offset:3168
	global_load_dwordx4 v[52:55], v140, s[14:15] offset:3696
	v_mov_b32_e32 v56, s15
	v_mad_u64_u32 v[74:75], s[2:3], s4, v248, 0
	v_add_co_u32_e32 v57, vcc, s14, v140
	v_mad_u64_u32 v[72:73], s[0:1], s6, v250, 0
	s_mul_hi_u32 s6, s4, 0x210
	s_mul_i32 s2, s4, 0x210
	s_movk_i32 s4, 0x1000
	v_addc_co_u32_e32 v56, vcc, 0, v56, vcc
	v_add_co_u32_e32 v76, vcc, s4, v57
	v_addc_co_u32_e32 v77, vcc, 0, v56, vcc
	global_load_dwordx4 v[56:59], v[76:77], off offset:128
	global_load_dwordx4 v[60:63], v[76:77], off offset:656
	s_mul_i32 s3, s5, 0x210
	v_mov_b32_e32 v64, v73
	v_mov_b32_e32 v65, v75
	s_add_i32 s3, s6, s3
	v_mad_u64_u32 v[78:79], s[6:7], s7, v250, v[64:65]
	v_mad_u64_u32 v[79:80], s[4:5], s5, v248, v[65:66]
	v_mov_b32_e32 v73, v78
	v_lshlrev_b64 v[72:73], 4, v[72:73]
	v_mov_b32_e32 v75, v79
	v_mov_b32_e32 v81, s13
	global_load_dwordx4 v[64:67], v[76:77], off offset:1184
	global_load_dwordx4 v[68:71], v[76:77], off offset:1712
	v_lshlrev_b64 v[74:75], 4, v[74:75]
	v_add_co_u32_e32 v72, vcc, s12, v72
	v_addc_co_u32_e32 v73, vcc, v81, v73, vcc
	v_add_co_u32_e32 v72, vcc, v72, v74
	v_addc_co_u32_e32 v73, vcc, v73, v75, vcc
	v_mov_b32_e32 v82, s3
	v_add_co_u32_e32 v74, vcc, s2, v72
	v_addc_co_u32_e32 v75, vcc, v73, v82, vcc
	v_mov_b32_e32 v83, s3
	;; [unrolled: 3-line block ×3, first 2 shown]
	v_add_co_u32_e32 v80, vcc, s2, v78
	v_addc_co_u32_e32 v81, vcc, v79, v84, vcc
	s_mov_b32 s0, 0x58e9ebb6
	s_mov_b32 s1, 0x3f631877
	s_waitcnt vmcnt(11) lgkmcnt(5)
	v_mul_f64 v[82:83], v[22:23], v[2:3]
	v_mul_f64 v[2:3], v[20:21], v[2:3]
	s_waitcnt vmcnt(10) lgkmcnt(4)
	v_mul_f64 v[84:85], v[26:27], v[6:7]
	v_mul_f64 v[6:7], v[24:25], v[6:7]
	;; [unrolled: 3-line block ×4, first 2 shown]
	v_fma_f64 v[20:21], v[20:21], v[0:1], v[82:83]
	v_fma_f64 v[2:3], v[0:1], v[22:23], -v[2:3]
	v_fma_f64 v[22:23], v[24:25], v[4:5], v[84:85]
	v_fma_f64 v[6:7], v[4:5], v[26:27], -v[6:7]
	;; [unrolled: 2-line block ×4, first 2 shown]
	s_waitcnt vmcnt(7) lgkmcnt(1)
	v_mul_f64 v[90:91], v[42:43], v[18:19]
	v_mul_f64 v[18:19], v[40:41], v[18:19]
	v_mul_f64 v[0:1], v[20:21], s[0:1]
	v_mul_f64 v[2:3], v[2:3], s[0:1]
	v_mul_f64 v[4:5], v[22:23], s[0:1]
	v_mul_f64 v[6:7], v[6:7], s[0:1]
	v_mul_f64 v[8:9], v[24:25], s[0:1]
	v_mul_f64 v[10:11], v[10:11], s[0:1]
	v_mul_f64 v[12:13], v[26:27], s[0:1]
	v_mul_f64 v[14:15], v[14:15], s[0:1]
	v_fma_f64 v[20:21], v[40:41], v[16:17], v[90:91]
	v_fma_f64 v[16:17], v[16:17], v[42:43], -v[18:19]
	s_waitcnt vmcnt(6) lgkmcnt(0)
	v_mul_f64 v[18:19], v[46:47], v[38:39]
	v_mul_f64 v[22:23], v[44:45], v[38:39]
	global_store_dwordx4 v[72:73], v[0:3], off
	global_store_dwordx4 v[74:75], v[4:7], off
	;; [unrolled: 1-line block ×4, first 2 shown]
	ds_read_b128 v[4:7], v171 offset:3168
	ds_read_b128 v[8:11], v171 offset:3696
	v_mul_f64 v[0:1], v[20:21], s[0:1]
	v_mul_f64 v[2:3], v[16:17], s[0:1]
	v_fma_f64 v[12:13], v[44:45], v[36:37], v[18:19]
	v_fma_f64 v[14:15], v[36:37], v[46:47], -v[22:23]
	s_waitcnt vmcnt(9) lgkmcnt(1)
	v_mul_f64 v[16:17], v[6:7], v[50:51]
	v_mul_f64 v[18:19], v[4:5], v[50:51]
	v_mov_b32_e32 v21, s3
	v_add_co_u32_e32 v20, vcc, s2, v80
	v_addc_co_u32_e32 v21, vcc, v81, v21, vcc
	global_store_dwordx4 v[20:21], v[0:3], off
	v_fma_f64 v[4:5], v[4:5], v[48:49], v[16:17]
	v_mul_f64 v[0:1], v[12:13], s[0:1]
	v_mul_f64 v[2:3], v[14:15], s[0:1]
	v_fma_f64 v[6:7], v[48:49], v[6:7], -v[18:19]
	s_waitcnt vmcnt(9) lgkmcnt(0)
	v_mul_f64 v[12:13], v[10:11], v[54:55]
	v_mul_f64 v[14:15], v[8:9], v[54:55]
	v_mov_b32_e32 v22, s3
	v_add_co_u32_e32 v16, vcc, s2, v20
	v_addc_co_u32_e32 v17, vcc, v21, v22, vcc
	global_store_dwordx4 v[16:17], v[0:3], off
	v_fma_f64 v[12:13], v[8:9], v[52:53], v[12:13]
	v_mul_f64 v[0:1], v[4:5], s[0:1]
	v_mul_f64 v[2:3], v[6:7], s[0:1]
	ds_read_b128 v[4:7], v171 offset:4224
	v_fma_f64 v[14:15], v[52:53], v[10:11], -v[14:15]
	ds_read_b128 v[8:11], v171 offset:4752
	v_add_co_u32_e32 v16, vcc, s2, v16
	s_waitcnt vmcnt(9) lgkmcnt(1)
	v_mul_f64 v[18:19], v[6:7], v[58:59]
	v_mul_f64 v[20:21], v[4:5], v[58:59]
	v_addc_co_u32_e32 v17, vcc, v17, v22, vcc
	global_store_dwordx4 v[16:17], v[0:3], off
	v_add_co_u32_e32 v16, vcc, s2, v16
	v_mul_f64 v[0:1], v[12:13], s[0:1]
	v_mul_f64 v[2:3], v[14:15], s[0:1]
	v_fma_f64 v[4:5], v[4:5], v[56:57], v[18:19]
	v_fma_f64 v[6:7], v[56:57], v[6:7], -v[20:21]
	s_waitcnt vmcnt(9) lgkmcnt(0)
	v_mul_f64 v[12:13], v[10:11], v[62:63]
	v_mul_f64 v[14:15], v[8:9], v[62:63]
	v_addc_co_u32_e32 v17, vcc, v17, v22, vcc
	v_mov_b32_e32 v18, s3
	global_store_dwordx4 v[16:17], v[0:3], off
	v_add_co_u32_e32 v16, vcc, s2, v16
	v_mul_f64 v[0:1], v[4:5], s[0:1]
	v_mul_f64 v[2:3], v[6:7], s[0:1]
	v_fma_f64 v[12:13], v[8:9], v[60:61], v[12:13]
	v_fma_f64 v[14:15], v[60:61], v[10:11], -v[14:15]
	ds_read_b128 v[4:7], v171 offset:5280
	ds_read_b128 v[8:11], v171 offset:5808
	v_addc_co_u32_e32 v17, vcc, v17, v18, vcc
	s_waitcnt vmcnt(9) lgkmcnt(1)
	v_mul_f64 v[18:19], v[6:7], v[66:67]
	v_mul_f64 v[20:21], v[4:5], v[66:67]
	s_waitcnt vmcnt(8) lgkmcnt(0)
	v_mul_f64 v[22:23], v[10:11], v[70:71]
	v_mul_f64 v[24:25], v[8:9], v[70:71]
	global_store_dwordx4 v[16:17], v[0:3], off
	v_fma_f64 v[4:5], v[4:5], v[64:65], v[18:19]
	v_mul_f64 v[0:1], v[12:13], s[0:1]
	v_mul_f64 v[2:3], v[14:15], s[0:1]
	v_fma_f64 v[6:7], v[64:65], v[6:7], -v[20:21]
	v_fma_f64 v[8:9], v[8:9], v[68:69], v[22:23]
	v_fma_f64 v[10:11], v[68:69], v[10:11], -v[24:25]
	v_mov_b32_e32 v13, s3
	v_add_co_u32_e32 v12, vcc, s2, v16
	v_addc_co_u32_e32 v13, vcc, v17, v13, vcc
	global_store_dwordx4 v[12:13], v[0:3], off
	v_mov_b32_e32 v14, s3
	v_mul_f64 v[0:1], v[4:5], s[0:1]
	v_mul_f64 v[2:3], v[6:7], s[0:1]
	;; [unrolled: 1-line block ×4, first 2 shown]
	v_add_co_u32_e32 v8, vcc, s2, v12
	v_addc_co_u32_e32 v9, vcc, v13, v14, vcc
	global_store_dwordx4 v[8:9], v[0:3], off
	s_nop 0
	v_mov_b32_e32 v0, s3
	v_add_co_u32_e32 v8, vcc, s2, v8
	v_addc_co_u32_e32 v9, vcc, v9, v0, vcc
	global_store_dwordx4 v[8:9], v[4:7], off
	global_load_dwordx4 v[0:3], v[76:77], off offset:2240
	ds_read_b128 v[4:7], v171 offset:6336
	s_waitcnt vmcnt(0) lgkmcnt(0)
	v_mul_f64 v[10:11], v[6:7], v[2:3]
	v_mul_f64 v[2:3], v[4:5], v[2:3]
	v_fma_f64 v[4:5], v[4:5], v[0:1], v[10:11]
	v_fma_f64 v[2:3], v[0:1], v[6:7], -v[2:3]
	v_mul_f64 v[0:1], v[4:5], s[0:1]
	v_mul_f64 v[2:3], v[2:3], s[0:1]
	v_mov_b32_e32 v5, s3
	v_add_co_u32_e32 v4, vcc, s2, v8
	v_addc_co_u32_e32 v5, vcc, v9, v5, vcc
	global_store_dwordx4 v[4:5], v[0:3], off
.LBB0_23:
	s_endpgm
	.section	.rodata,"a",@progbits
	.p2align	6, 0x0
	.amdhsa_kernel bluestein_single_fwd_len429_dim1_dp_op_CI_CI
		.amdhsa_group_segment_fixed_size 20592
		.amdhsa_private_segment_fixed_size 340
		.amdhsa_kernarg_size 104
		.amdhsa_user_sgpr_count 6
		.amdhsa_user_sgpr_private_segment_buffer 1
		.amdhsa_user_sgpr_dispatch_ptr 0
		.amdhsa_user_sgpr_queue_ptr 0
		.amdhsa_user_sgpr_kernarg_segment_ptr 1
		.amdhsa_user_sgpr_dispatch_id 0
		.amdhsa_user_sgpr_flat_scratch_init 0
		.amdhsa_user_sgpr_private_segment_size 0
		.amdhsa_uses_dynamic_stack 0
		.amdhsa_system_sgpr_private_segment_wavefront_offset 1
		.amdhsa_system_sgpr_workgroup_id_x 1
		.amdhsa_system_sgpr_workgroup_id_y 0
		.amdhsa_system_sgpr_workgroup_id_z 0
		.amdhsa_system_sgpr_workgroup_info 0
		.amdhsa_system_vgpr_workitem_id 0
		.amdhsa_next_free_vgpr 256
		.amdhsa_next_free_sgpr 56
		.amdhsa_reserve_vcc 1
		.amdhsa_reserve_flat_scratch 0
		.amdhsa_float_round_mode_32 0
		.amdhsa_float_round_mode_16_64 0
		.amdhsa_float_denorm_mode_32 3
		.amdhsa_float_denorm_mode_16_64 3
		.amdhsa_dx10_clamp 1
		.amdhsa_ieee_mode 1
		.amdhsa_fp16_overflow 0
		.amdhsa_exception_fp_ieee_invalid_op 0
		.amdhsa_exception_fp_denorm_src 0
		.amdhsa_exception_fp_ieee_div_zero 0
		.amdhsa_exception_fp_ieee_overflow 0
		.amdhsa_exception_fp_ieee_underflow 0
		.amdhsa_exception_fp_ieee_inexact 0
		.amdhsa_exception_int_div_zero 0
	.end_amdhsa_kernel
	.text
.Lfunc_end0:
	.size	bluestein_single_fwd_len429_dim1_dp_op_CI_CI, .Lfunc_end0-bluestein_single_fwd_len429_dim1_dp_op_CI_CI
                                        ; -- End function
	.section	.AMDGPU.csdata,"",@progbits
; Kernel info:
; codeLenInByte = 22144
; NumSgprs: 60
; NumVgprs: 256
; ScratchSize: 340
; MemoryBound: 0
; FloatMode: 240
; IeeeMode: 1
; LDSByteSize: 20592 bytes/workgroup (compile time only)
; SGPRBlocks: 7
; VGPRBlocks: 63
; NumSGPRsForWavesPerEU: 60
; NumVGPRsForWavesPerEU: 256
; Occupancy: 1
; WaveLimiterHint : 1
; COMPUTE_PGM_RSRC2:SCRATCH_EN: 1
; COMPUTE_PGM_RSRC2:USER_SGPR: 6
; COMPUTE_PGM_RSRC2:TRAP_HANDLER: 0
; COMPUTE_PGM_RSRC2:TGID_X_EN: 1
; COMPUTE_PGM_RSRC2:TGID_Y_EN: 0
; COMPUTE_PGM_RSRC2:TGID_Z_EN: 0
; COMPUTE_PGM_RSRC2:TIDIG_COMP_CNT: 0
	.type	__hip_cuid_64cc9565413ecbdf,@object ; @__hip_cuid_64cc9565413ecbdf
	.section	.bss,"aw",@nobits
	.globl	__hip_cuid_64cc9565413ecbdf
__hip_cuid_64cc9565413ecbdf:
	.byte	0                               ; 0x0
	.size	__hip_cuid_64cc9565413ecbdf, 1

	.ident	"AMD clang version 19.0.0git (https://github.com/RadeonOpenCompute/llvm-project roc-6.4.0 25133 c7fe45cf4b819c5991fe208aaa96edf142730f1d)"
	.section	".note.GNU-stack","",@progbits
	.addrsig
	.addrsig_sym __hip_cuid_64cc9565413ecbdf
	.amdgpu_metadata
---
amdhsa.kernels:
  - .args:
      - .actual_access:  read_only
        .address_space:  global
        .offset:         0
        .size:           8
        .value_kind:     global_buffer
      - .actual_access:  read_only
        .address_space:  global
        .offset:         8
        .size:           8
        .value_kind:     global_buffer
      - .actual_access:  read_only
        .address_space:  global
        .offset:         16
        .size:           8
        .value_kind:     global_buffer
      - .actual_access:  read_only
        .address_space:  global
        .offset:         24
        .size:           8
        .value_kind:     global_buffer
      - .actual_access:  read_only
        .address_space:  global
        .offset:         32
        .size:           8
        .value_kind:     global_buffer
      - .offset:         40
        .size:           8
        .value_kind:     by_value
      - .address_space:  global
        .offset:         48
        .size:           8
        .value_kind:     global_buffer
      - .address_space:  global
        .offset:         56
        .size:           8
        .value_kind:     global_buffer
      - .address_space:  global
        .offset:         64
        .size:           8
        .value_kind:     global_buffer
      - .address_space:  global
        .offset:         72
        .size:           8
        .value_kind:     global_buffer
      - .offset:         80
        .size:           4
        .value_kind:     by_value
      - .address_space:  global
        .offset:         88
        .size:           8
        .value_kind:     global_buffer
      - .address_space:  global
        .offset:         96
        .size:           8
        .value_kind:     global_buffer
    .group_segment_fixed_size: 20592
    .kernarg_segment_align: 8
    .kernarg_segment_size: 104
    .language:       OpenCL C
    .language_version:
      - 2
      - 0
    .max_flat_workgroup_size: 117
    .name:           bluestein_single_fwd_len429_dim1_dp_op_CI_CI
    .private_segment_fixed_size: 340
    .sgpr_count:     60
    .sgpr_spill_count: 0
    .symbol:         bluestein_single_fwd_len429_dim1_dp_op_CI_CI.kd
    .uniform_work_group_size: 1
    .uses_dynamic_stack: false
    .vgpr_count:     256
    .vgpr_spill_count: 86
    .wavefront_size: 64
amdhsa.target:   amdgcn-amd-amdhsa--gfx906
amdhsa.version:
  - 1
  - 2
...

	.end_amdgpu_metadata
